;; amdgpu-corpus repo=ROCm/rocFFT kind=compiled arch=gfx950 opt=O3
	.text
	.amdgcn_target "amdgcn-amd-amdhsa--gfx950"
	.amdhsa_code_object_version 6
	.protected	bluestein_single_back_len405_dim1_dp_op_CI_CI ; -- Begin function bluestein_single_back_len405_dim1_dp_op_CI_CI
	.globl	bluestein_single_back_len405_dim1_dp_op_CI_CI
	.p2align	8
	.type	bluestein_single_back_len405_dim1_dp_op_CI_CI,@function
bluestein_single_back_len405_dim1_dp_op_CI_CI: ; @bluestein_single_back_len405_dim1_dp_op_CI_CI
; %bb.0:
	s_load_dwordx4 s[12:15], s[0:1], 0x28
	v_mul_u32_u24_e32 v1, 0x97c, v0
	v_lshrrev_b32_e32 v1, 16, v1
	v_lshl_add_u32 v2, s2, 2, v1
	v_mov_b32_e32 v3, 0
	s_waitcnt lgkmcnt(0)
	v_cmp_gt_u64_e32 vcc, s[12:13], v[2:3]
	s_and_saveexec_b64 s[2:3], vcc
	s_cbranch_execz .LBB0_2
; %bb.1:
	s_load_dwordx4 s[4:7], s[0:1], 0x0
	s_load_dwordx4 s[8:11], s[0:1], 0x18
	s_load_dwordx2 s[2:3], s[0:1], 0x38
	v_mov_b32_e32 v4, s14
	v_mov_b32_e32 v5, s15
	;; [unrolled: 1-line block ×3, first 2 shown]
	s_mov_b32 s14, 0x4755a5e
	s_waitcnt lgkmcnt(0)
	v_mov_b32_e32 v6, s2
	v_mov_b32_e32 v7, s3
	s_load_dwordx4 s[0:3], s[10:11], 0x0
	v_accvgpr_write_b32 a9, v7
	v_accvgpr_write_b32 a8, v6
	v_and_b32_e32 v6, 3, v1
	v_mul_u32_u24_e32 v10, 0x195, v6
	s_waitcnt lgkmcnt(0)
	v_mad_u64_u32 v[8:9], s[10:11], s2, v2, 0
	s_load_dwordx4 s[8:11], s[8:9], 0x0
	v_mov_b32_e32 v6, v9
	v_mad_u64_u32 v[6:7], s[2:3], s3, v2, v[6:7]
	v_mov_b32_e32 v9, v6
	v_accvgpr_write_b32 a15, v9
	s_waitcnt lgkmcnt(0)
	v_mad_u64_u32 v[6:7], s[2:3], s10, v2, 0
	v_accvgpr_write_b32 a14, v8
	v_mov_b32_e32 v8, v7
	v_mad_u64_u32 v[8:9], s[2:3], s11, v2, v[8:9]
	v_mul_lo_u16_e32 v1, 27, v1
	v_sub_u16_e32 v40, v0, v1
	s_mov_b32 s2, 0
	v_mov_b32_e32 v41, s2
	v_mad_u64_u32 v[0:1], s[2:3], s8, v40, 0
	v_mov_b32_e32 v2, v1
	v_mov_b32_e32 v7, v8
	v_mad_u64_u32 v[8:9], s[2:3], s9, v40, v[2:3]
	v_mov_b32_e32 v1, v8
	v_lshl_add_u64 v[4:5], v[6:7], 4, v[4:5]
	v_lshl_add_u64 v[0:1], v[0:1], 4, v[4:5]
	v_lshlrev_b32_e32 v2, 4, v40
	global_load_dwordx4 v[4:7], v[0:1], off
	global_load_dwordx4 v[12:15], v2, s[4:5]
	s_mov_b64 s[2:3], 0x51
	v_lshlrev_b32_e32 v226, 4, v10
	v_lshl_add_u64 v[204:205], v[40:41], 0, s[2:3]
	v_mad_u64_u32 v[0:1], s[2:3], s8, v43, v[0:1]
	v_add_u32_e32 v42, v226, v2
	s_mul_i32 s2, s9, 0x510
	v_add_u32_e32 v1, s2, v1
	v_lshl_add_u64 v[246:247], s[4:5], 0, v[2:3]
	s_movk_i32 s3, 0x1000
	v_add_co_u32_e32 v240, vcc, s3, v246
	v_mov_b32_e32 v3, 0xffffed70
	s_nop 0
	v_addc_co_u32_e32 v241, vcc, 0, v247, vcc
	s_mul_i32 s3, s9, 0xffffed70
	s_sub_i32 s3, s3, s8
	s_mov_b32 s17, 0xbfee6f0e
	s_mov_b32 s15, 0x3fe2cf23
	;; [unrolled: 1-line block ×4, first 2 shown]
	v_lshl_add_u64 v[200:201], v[40:41], 0, 27
	v_lshl_add_u64 v[202:203], v[40:41], 0, 54
	v_cmp_gt_u16_e32 vcc, 15, v40
	s_movk_i32 s18, 0x89
	v_lshlrev_b32_e32 v203, 5, v40
	s_waitcnt vmcnt(0)
	v_accvgpr_write_b32 a31, v15
	v_mul_f64 v[8:9], v[6:7], v[14:15]
	v_fmac_f64_e32 v[8:9], v[4:5], v[12:13]
	v_mul_f64 v[4:5], v[4:5], v[14:15]
	v_fma_f64 v[10:11], v[6:7], v[12:13], -v[4:5]
	ds_write_b128 v42, v[8:11]
	v_accvgpr_write_b32 a30, v14
	v_accvgpr_write_b32 a29, v13
	;; [unrolled: 1-line block ×3, first 2 shown]
	global_load_dwordx4 v[4:7], v[0:1], off
	global_load_dwordx4 v[12:15], v2, s[4:5] offset:1296
	v_mad_u64_u32 v[0:1], s[10:11], s8, v43, v[0:1]
	v_add_u32_e32 v1, s2, v1
	s_waitcnt vmcnt(0)
	v_mul_f64 v[8:9], v[6:7], v[14:15]
	v_fmac_f64_e32 v[8:9], v[4:5], v[12:13]
	v_mul_f64 v[4:5], v[4:5], v[14:15]
	v_fma_f64 v[10:11], v[6:7], v[12:13], -v[4:5]
	v_accvgpr_write_b32 a43, v15
	ds_write_b128 v42, v[8:11] offset:1296
	v_accvgpr_write_b32 a42, v14
	v_accvgpr_write_b32 a41, v13
	;; [unrolled: 1-line block ×3, first 2 shown]
	global_load_dwordx4 v[4:7], v[0:1], off
	global_load_dwordx4 v[12:15], v2, s[4:5] offset:2592
	v_mad_u64_u32 v[0:1], s[10:11], s8, v43, v[0:1]
	v_add_u32_e32 v1, s2, v1
	s_waitcnt vmcnt(0)
	v_mul_f64 v[8:9], v[6:7], v[14:15]
	v_fmac_f64_e32 v[8:9], v[4:5], v[12:13]
	v_mul_f64 v[4:5], v[4:5], v[14:15]
	v_fma_f64 v[10:11], v[6:7], v[12:13], -v[4:5]
	ds_write_b128 v42, v[8:11] offset:2592
	global_load_dwordx4 v[4:7], v[0:1], off
	global_load_dwordx4 v[52:55], v2, s[4:5] offset:3888
	v_mad_u64_u32 v[0:1], s[10:11], s8, v43, v[0:1]
	v_add_u32_e32 v1, s2, v1
	global_load_dwordx4 v[56:59], v[240:241], off offset:1088
	v_accvgpr_write_b32 a51, v15
	v_accvgpr_write_b32 a50, v14
	;; [unrolled: 1-line block ×4, first 2 shown]
	s_waitcnt vmcnt(1)
	v_mul_f64 v[8:9], v[6:7], v[54:55]
	v_fmac_f64_e32 v[8:9], v[4:5], v[52:53]
	v_mul_f64 v[4:5], v[4:5], v[54:55]
	v_fma_f64 v[10:11], v[6:7], v[52:53], -v[4:5]
	global_load_dwordx4 v[4:7], v[0:1], off
	ds_write_b128 v42, v[8:11] offset:3888
	v_mad_u64_u32 v[0:1], s[10:11], s8, v3, v[0:1]
	v_add_u32_e32 v1, s3, v1
	s_mov_b64 s[10:11], 0x6c
	v_lshl_add_u64 v[212:213], v[40:41], 0, s[10:11]
	v_mov_b32_e32 v3, 0xffffed70
	s_waitcnt vmcnt(0)
	v_mul_f64 v[8:9], v[6:7], v[58:59]
	v_fmac_f64_e32 v[8:9], v[4:5], v[56:57]
	v_mul_f64 v[4:5], v[4:5], v[58:59]
	v_fma_f64 v[10:11], v[6:7], v[56:57], -v[4:5]
	ds_write_b128 v42, v[8:11] offset:5184
	global_load_dwordx4 v[4:7], v[0:1], off
	global_load_dwordx4 v[12:15], v2, s[4:5] offset:432
	v_mad_u64_u32 v[0:1], s[10:11], s8, v43, v[0:1]
	v_add_u32_e32 v1, s2, v1
	s_waitcnt vmcnt(0)
	v_mul_f64 v[8:9], v[6:7], v[14:15]
	v_fmac_f64_e32 v[8:9], v[4:5], v[12:13]
	v_mul_f64 v[4:5], v[4:5], v[14:15]
	v_fma_f64 v[10:11], v[6:7], v[12:13], -v[4:5]
	v_accvgpr_write_b32 a27, v15
	ds_write_b128 v42, v[8:11] offset:432
	v_accvgpr_write_b32 a26, v14
	v_accvgpr_write_b32 a25, v13
	v_accvgpr_write_b32 a24, v12
	global_load_dwordx4 v[4:7], v[0:1], off
	global_load_dwordx4 v[12:15], v2, s[4:5] offset:1728
	v_mad_u64_u32 v[0:1], s[10:11], s8, v43, v[0:1]
	v_add_u32_e32 v1, s2, v1
	s_waitcnt vmcnt(0)
	v_mul_f64 v[8:9], v[6:7], v[14:15]
	v_fmac_f64_e32 v[8:9], v[4:5], v[12:13]
	v_mul_f64 v[4:5], v[4:5], v[14:15]
	v_fma_f64 v[10:11], v[6:7], v[12:13], -v[4:5]
	v_accvgpr_write_b32 a35, v15
	ds_write_b128 v42, v[8:11] offset:1728
	v_accvgpr_write_b32 a34, v14
	v_accvgpr_write_b32 a33, v13
	v_accvgpr_write_b32 a32, v12
	;; [unrolled: 14-line block ×3, first 2 shown]
	global_load_dwordx4 v[4:7], v[0:1], off
	global_load_dwordx4 v[12:15], v[240:241], off offset:224
	v_mad_u64_u32 v[0:1], s[10:11], s8, v43, v[0:1]
	v_add_u32_e32 v1, s2, v1
	s_waitcnt vmcnt(0)
	v_mul_f64 v[8:9], v[6:7], v[14:15]
	v_fmac_f64_e32 v[8:9], v[4:5], v[12:13]
	v_mul_f64 v[4:5], v[4:5], v[14:15]
	v_fma_f64 v[10:11], v[6:7], v[12:13], -v[4:5]
	ds_write_b128 v42, v[8:11] offset:4320
	global_load_dwordx4 v[4:7], v[0:1], off
	global_load_dwordx4 v[48:51], v[240:241], off offset:1520
	v_mad_u64_u32 v[0:1], s[10:11], s8, v3, v[0:1]
	v_accvgpr_write_b32 a47, v15
	v_add_u32_e32 v1, s3, v1
	v_accvgpr_write_b32 a46, v14
	v_accvgpr_write_b32 a45, v13
	v_accvgpr_write_b32 a44, v12
	s_mov_b32 s3, 0xbfebb67a
	s_waitcnt vmcnt(0)
	v_mul_f64 v[8:9], v[6:7], v[50:51]
	v_fmac_f64_e32 v[8:9], v[4:5], v[48:49]
	v_mul_f64 v[4:5], v[4:5], v[50:51]
	v_fma_f64 v[10:11], v[6:7], v[48:49], -v[4:5]
	ds_write_b128 v42, v[8:11] offset:5616
	global_load_dwordx4 v[4:7], v[0:1], off
	global_load_dwordx4 v[12:15], v2, s[4:5] offset:864
	v_mad_u64_u32 v[0:1], s[10:11], s8, v43, v[0:1]
	v_add_u32_e32 v1, s2, v1
	s_waitcnt vmcnt(0)
	v_mul_f64 v[8:9], v[6:7], v[14:15]
	v_fmac_f64_e32 v[8:9], v[4:5], v[12:13]
	v_mul_f64 v[4:5], v[4:5], v[14:15]
	v_fma_f64 v[10:11], v[6:7], v[12:13], -v[4:5]
	v_accvgpr_write_b32 a19, v15
	ds_write_b128 v42, v[8:11] offset:864
	v_accvgpr_write_b32 a18, v14
	v_accvgpr_write_b32 a17, v13
	;; [unrolled: 1-line block ×3, first 2 shown]
	global_load_dwordx4 v[4:7], v[0:1], off
	global_load_dwordx4 v[12:15], v2, s[4:5] offset:2160
	s_waitcnt vmcnt(0)
	v_mul_f64 v[8:9], v[6:7], v[14:15]
	v_fmac_f64_e32 v[8:9], v[4:5], v[12:13]
	v_mul_f64 v[4:5], v[4:5], v[14:15]
	v_fma_f64 v[10:11], v[6:7], v[12:13], -v[4:5]
	ds_write_b128 v42, v[8:11] offset:2160
	v_mad_u64_u32 v[8:9], s[10:11], s8, v43, v[0:1]
	v_accvgpr_write_b32 a23, v15
	v_add_u32_e32 v9, s2, v9
	v_accvgpr_write_b32 a22, v14
	v_accvgpr_write_b32 a21, v13
	;; [unrolled: 1-line block ×3, first 2 shown]
	global_load_dwordx4 v[4:7], v[8:9], off
	global_load_dwordx4 v[10:13], v2, s[4:5] offset:3456
	v_mad_u64_u32 v[8:9], s[4:5], s8, v43, v[8:9]
	v_add_u32_e32 v9, s2, v9
	s_mov_b32 s10, 0x372fe950
	s_mov_b32 s11, 0x3fd3c6ef
	s_waitcnt vmcnt(0)
	v_mul_f64 v[0:1], v[6:7], v[12:13]
	v_mul_f64 v[2:3], v[4:5], v[12:13]
	v_fmac_f64_e32 v[0:1], v[4:5], v[10:11]
	v_fma_f64 v[2:3], v[6:7], v[10:11], -v[2:3]
	v_accvgpr_write_b32 a4, v10
	ds_write_b128 v42, v[0:3] offset:3456
	v_accvgpr_write_b32 a5, v11
	v_accvgpr_write_b32 a6, v12
	;; [unrolled: 1-line block ×3, first 2 shown]
	global_load_dwordx4 v[0:3], v[8:9], off
	global_load_dwordx4 v[10:13], v[240:241], off offset:656
	s_waitcnt vmcnt(0)
	v_mul_f64 v[4:5], v[2:3], v[12:13]
	v_fmac_f64_e32 v[4:5], v[0:1], v[10:11]
	v_mul_f64 v[0:1], v[0:1], v[12:13]
	v_fma_f64 v[6:7], v[2:3], v[10:11], -v[0:1]
	ds_write_b128 v42, v[4:7] offset:4752
	v_mad_u64_u32 v[4:5], s[4:5], s8, v43, v[8:9]
	v_add_u32_e32 v5, s2, v5
	global_load_dwordx4 v[0:3], v[4:5], off
	global_load_dwordx4 v[6:9], v[240:241], off offset:1952
	v_accvgpr_write_b32 a0, v10
	v_accvgpr_write_b32 a1, v11
	;; [unrolled: 1-line block ×4, first 2 shown]
	s_mov_b32 s8, 0x134454ff
	s_mov_b32 s9, 0x3fee6f0e
	;; [unrolled: 1-line block ×3, first 2 shown]
	s_movk_i32 s2, 0xcd
	s_mov_b32 s4, 0xe8584caa
	s_mov_b32 s5, 0x3febb67a
	s_waitcnt vmcnt(0)
	v_mov_b64_e32 v[10:11], v[8:9]
	v_mov_b64_e32 v[8:9], v[6:7]
	v_mul_f64 v[4:5], v[2:3], v[10:11]
	v_fmac_f64_e32 v[4:5], v[0:1], v[8:9]
	v_mul_f64 v[0:1], v[0:1], v[10:11]
	v_fma_f64 v[6:7], v[2:3], v[8:9], -v[0:1]
	v_accvgpr_write_b32 a13, v11
	v_accvgpr_write_b32 a12, v10
	;; [unrolled: 1-line block ×4, first 2 shown]
	ds_write_b128 v42, v[4:7] offset:6048
	s_waitcnt lgkmcnt(0)
	s_barrier
	ds_read_b128 v[0:3], v42
	ds_read_b128 v[80:83], v42 offset:1296
	ds_read_b128 v[84:87], v42 offset:2592
	;; [unrolled: 1-line block ×14, first 2 shown]
	s_waitcnt lgkmcnt(13)
	v_add_f64 v[16:17], v[0:1], v[80:81]
	s_waitcnt lgkmcnt(12)
	v_add_f64 v[16:17], v[16:17], v[84:85]
	;; [unrolled: 2-line block ×4, first 2 shown]
	v_add_f64 v[16:17], v[84:85], v[88:89]
	v_fma_f64 v[16:17], -0.5, v[16:17], v[0:1]
	v_add_f64 v[18:19], v[82:83], -v[94:95]
	v_fma_f64 v[32:33], s[8:9], v[18:19], v[16:17]
	v_add_f64 v[26:27], v[86:87], -v[90:91]
	v_add_f64 v[34:35], v[80:81], -v[84:85]
	;; [unrolled: 1-line block ×3, first 2 shown]
	v_fmac_f64_e32 v[16:17], s[16:17], v[18:19]
	v_fmac_f64_e32 v[32:33], s[14:15], v[26:27]
	v_add_f64 v[34:35], v[34:35], v[44:45]
	v_fmac_f64_e32 v[16:17], s[12:13], v[26:27]
	v_fmac_f64_e32 v[32:33], s[10:11], v[34:35]
	;; [unrolled: 1-line block ×3, first 2 shown]
	v_add_f64 v[34:35], v[80:81], v[92:93]
	v_fmac_f64_e32 v[0:1], -0.5, v[34:35]
	v_fma_f64 v[72:73], s[16:17], v[26:27], v[0:1]
	v_fmac_f64_e32 v[0:1], s[8:9], v[26:27]
	v_fmac_f64_e32 v[72:73], s[14:15], v[18:19]
	;; [unrolled: 1-line block ×3, first 2 shown]
	v_add_f64 v[18:19], v[2:3], v[82:83]
	v_add_f64 v[18:19], v[18:19], v[86:87]
	v_add_f64 v[18:19], v[18:19], v[90:91]
	v_add_f64 v[34:35], v[84:85], -v[80:81]
	v_add_f64 v[44:45], v[88:89], -v[92:93]
	v_add_f64 v[26:27], v[18:19], v[94:95]
	v_add_f64 v[18:19], v[86:87], v[90:91]
	;; [unrolled: 1-line block ×3, first 2 shown]
	v_fma_f64 v[18:19], -0.5, v[18:19], v[2:3]
	v_add_f64 v[44:45], v[80:81], -v[92:93]
	v_fmac_f64_e32 v[72:73], s[10:11], v[34:35]
	v_fmac_f64_e32 v[0:1], s[10:11], v[34:35]
	v_fma_f64 v[34:35], s[16:17], v[44:45], v[18:19]
	v_add_f64 v[46:47], v[84:85], -v[88:89]
	v_add_f64 v[74:75], v[82:83], -v[86:87]
	;; [unrolled: 1-line block ×3, first 2 shown]
	v_fmac_f64_e32 v[18:19], s[8:9], v[44:45]
	v_fmac_f64_e32 v[34:35], s[12:13], v[46:47]
	v_add_f64 v[74:75], v[74:75], v[80:81]
	v_fmac_f64_e32 v[18:19], s[14:15], v[46:47]
	v_fmac_f64_e32 v[34:35], s[10:11], v[74:75]
	;; [unrolled: 1-line block ×3, first 2 shown]
	v_add_f64 v[74:75], v[82:83], v[94:95]
	v_fmac_f64_e32 v[2:3], -0.5, v[74:75]
	v_fma_f64 v[74:75], s[8:9], v[46:47], v[2:3]
	v_fmac_f64_e32 v[2:3], s[16:17], v[46:47]
	v_fmac_f64_e32 v[74:75], s[12:13], v[44:45]
	;; [unrolled: 1-line block ×3, first 2 shown]
	s_waitcnt lgkmcnt(8)
	v_add_f64 v[44:45], v[4:5], v[60:61]
	v_add_f64 v[80:81], v[86:87], -v[82:83]
	v_add_f64 v[82:83], v[90:91], -v[94:95]
	s_waitcnt lgkmcnt(7)
	v_add_f64 v[44:45], v[44:45], v[64:65]
	v_add_f64 v[80:81], v[80:81], v[82:83]
	s_waitcnt lgkmcnt(6)
	v_add_f64 v[44:45], v[44:45], v[68:69]
	v_fmac_f64_e32 v[74:75], s[10:11], v[80:81]
	v_fmac_f64_e32 v[2:3], s[10:11], v[80:81]
	s_waitcnt lgkmcnt(5)
	v_add_f64 v[80:81], v[44:45], v[76:77]
	v_add_f64 v[44:45], v[64:65], v[68:69]
	v_fma_f64 v[84:85], -0.5, v[44:45], v[4:5]
	v_add_f64 v[44:45], v[62:63], -v[78:79]
	v_fma_f64 v[88:89], s[8:9], v[44:45], v[84:85]
	v_add_f64 v[46:47], v[66:67], -v[70:71]
	v_add_f64 v[82:83], v[60:61], -v[64:65]
	;; [unrolled: 1-line block ×3, first 2 shown]
	v_fmac_f64_e32 v[84:85], s[16:17], v[44:45]
	v_fmac_f64_e32 v[88:89], s[14:15], v[46:47]
	v_add_f64 v[82:83], v[82:83], v[86:87]
	v_fmac_f64_e32 v[84:85], s[12:13], v[46:47]
	v_fmac_f64_e32 v[88:89], s[10:11], v[82:83]
	;; [unrolled: 1-line block ×3, first 2 shown]
	v_add_f64 v[82:83], v[60:61], v[76:77]
	v_fmac_f64_e32 v[4:5], -0.5, v[82:83]
	v_fma_f64 v[92:93], s[16:17], v[46:47], v[4:5]
	v_fmac_f64_e32 v[4:5], s[8:9], v[46:47]
	v_fmac_f64_e32 v[92:93], s[14:15], v[44:45]
	;; [unrolled: 1-line block ×3, first 2 shown]
	v_add_f64 v[44:45], v[6:7], v[62:63]
	v_add_f64 v[82:83], v[64:65], -v[60:61]
	v_add_f64 v[86:87], v[68:69], -v[76:77]
	v_add_f64 v[44:45], v[44:45], v[66:67]
	v_add_f64 v[82:83], v[82:83], v[86:87]
	;; [unrolled: 1-line block ×3, first 2 shown]
	v_fmac_f64_e32 v[92:93], s[10:11], v[82:83]
	v_fmac_f64_e32 v[4:5], s[10:11], v[82:83]
	v_add_f64 v[82:83], v[44:45], v[78:79]
	v_add_f64 v[44:45], v[66:67], v[70:71]
	v_fma_f64 v[86:87], -0.5, v[44:45], v[6:7]
	v_add_f64 v[44:45], v[60:61], -v[76:77]
	v_fma_f64 v[90:91], s[16:17], v[44:45], v[86:87]
	v_add_f64 v[46:47], v[64:65], -v[68:69]
	v_add_f64 v[60:61], v[62:63], -v[66:67]
	;; [unrolled: 1-line block ×3, first 2 shown]
	v_fmac_f64_e32 v[86:87], s[8:9], v[44:45]
	v_fmac_f64_e32 v[90:91], s[12:13], v[46:47]
	v_add_f64 v[60:61], v[60:61], v[64:65]
	v_fmac_f64_e32 v[86:87], s[14:15], v[46:47]
	v_fmac_f64_e32 v[90:91], s[10:11], v[60:61]
	;; [unrolled: 1-line block ×3, first 2 shown]
	v_add_f64 v[60:61], v[62:63], v[78:79]
	v_fmac_f64_e32 v[6:7], -0.5, v[60:61]
	v_fma_f64 v[94:95], s[8:9], v[46:47], v[6:7]
	v_fmac_f64_e32 v[6:7], s[16:17], v[46:47]
	v_fmac_f64_e32 v[94:95], s[12:13], v[44:45]
	;; [unrolled: 1-line block ×3, first 2 shown]
	s_waitcnt lgkmcnt(3)
	v_add_f64 v[44:45], v[8:9], v[12:13]
	v_add_f64 v[60:61], v[66:67], -v[62:63]
	v_add_f64 v[62:63], v[70:71], -v[78:79]
	s_waitcnt lgkmcnt(2)
	v_add_f64 v[44:45], v[44:45], v[20:21]
	v_add_f64 v[60:61], v[60:61], v[62:63]
	s_waitcnt lgkmcnt(1)
	v_add_f64 v[44:45], v[44:45], v[28:29]
	v_fmac_f64_e32 v[94:95], s[10:11], v[60:61]
	v_fmac_f64_e32 v[6:7], s[10:11], v[60:61]
	s_waitcnt lgkmcnt(0)
	v_add_f64 v[60:61], v[44:45], v[36:37]
	v_add_f64 v[44:45], v[20:21], v[28:29]
	v_fma_f64 v[64:65], -0.5, v[44:45], v[8:9]
	v_add_f64 v[44:45], v[14:15], -v[38:39]
	v_fma_f64 v[68:69], s[8:9], v[44:45], v[64:65]
	v_add_f64 v[46:47], v[22:23], -v[30:31]
	v_add_f64 v[62:63], v[12:13], -v[20:21]
	;; [unrolled: 1-line block ×3, first 2 shown]
	v_fmac_f64_e32 v[64:65], s[16:17], v[44:45]
	v_fmac_f64_e32 v[68:69], s[14:15], v[46:47]
	v_add_f64 v[62:63], v[62:63], v[66:67]
	v_fmac_f64_e32 v[64:65], s[12:13], v[46:47]
	v_fmac_f64_e32 v[68:69], s[10:11], v[62:63]
	;; [unrolled: 1-line block ×3, first 2 shown]
	v_add_f64 v[62:63], v[12:13], v[36:37]
	v_fmac_f64_e32 v[8:9], -0.5, v[62:63]
	v_fma_f64 v[76:77], s[16:17], v[46:47], v[8:9]
	v_fmac_f64_e32 v[8:9], s[8:9], v[46:47]
	v_fmac_f64_e32 v[76:77], s[14:15], v[44:45]
	;; [unrolled: 1-line block ×3, first 2 shown]
	v_add_f64 v[44:45], v[10:11], v[14:15]
	v_add_f64 v[62:63], v[20:21], -v[12:13]
	v_add_f64 v[66:67], v[28:29], -v[36:37]
	v_add_f64 v[44:45], v[44:45], v[22:23]
	v_add_f64 v[62:63], v[62:63], v[66:67]
	;; [unrolled: 1-line block ×3, first 2 shown]
	v_fmac_f64_e32 v[76:77], s[10:11], v[62:63]
	v_fmac_f64_e32 v[8:9], s[10:11], v[62:63]
	v_add_f64 v[62:63], v[44:45], v[38:39]
	v_add_f64 v[44:45], v[22:23], v[30:31]
	v_fma_f64 v[66:67], -0.5, v[44:45], v[10:11]
	v_add_f64 v[12:13], v[12:13], -v[36:37]
	v_fma_f64 v[70:71], s[16:17], v[12:13], v[66:67]
	v_add_f64 v[20:21], v[20:21], -v[28:29]
	v_add_f64 v[28:29], v[14:15], -v[22:23]
	;; [unrolled: 1-line block ×3, first 2 shown]
	v_fmac_f64_e32 v[66:67], s[8:9], v[12:13]
	v_fmac_f64_e32 v[70:71], s[12:13], v[20:21]
	v_add_f64 v[28:29], v[28:29], v[36:37]
	v_fmac_f64_e32 v[66:67], s[14:15], v[20:21]
	v_fmac_f64_e32 v[70:71], s[10:11], v[28:29]
	;; [unrolled: 1-line block ×3, first 2 shown]
	v_add_f64 v[28:29], v[14:15], v[38:39]
	v_fmac_f64_e32 v[10:11], -0.5, v[28:29]
	v_fma_f64 v[78:79], s[8:9], v[20:21], v[10:11]
	v_fmac_f64_e32 v[10:11], s[16:17], v[20:21]
	v_fmac_f64_e32 v[78:79], s[12:13], v[12:13]
	;; [unrolled: 1-line block ×3, first 2 shown]
	v_mul_lo_u16_e32 v12, 5, v40
	v_lshl_add_u32 v44, v12, 4, v226
	s_barrier
	ds_write_b128 v44, v[24:27]
	ds_write_b128 v44, v[32:35] offset:16
	ds_write_b128 v44, v[72:75] offset:32
	ds_write_b128 v44, v[0:3] offset:48
	ds_write_b128 v44, v[16:19] offset:64
	v_mul_lo_u16_sdwa v32, v40, s2 dst_sel:DWORD dst_unused:UNUSED_PAD src0_sel:BYTE_0 src1_sel:DWORD
	v_lshrrev_b16_e32 v46, 10, v32
	v_mul_lo_u16_e32 v32, 5, v46
	v_mul_u32_u24_e32 v0, 5, v200
	v_sub_u16_e32 v47, v40, v32
	v_add_f64 v[14:15], v[22:23], -v[14:15]
	v_add_f64 v[22:23], v[30:31], -v[38:39]
	v_lshl_add_u32 v0, v0, 4, v226
	v_lshlrev_b16_e32 v32, 1, v47
	v_add_f64 v[14:15], v[14:15], v[22:23]
	ds_write_b128 v0, v[80:83]
	ds_write_b128 v0, v[88:91] offset:16
	ds_write_b128 v0, v[92:95] offset:32
	;; [unrolled: 1-line block ×4, first 2 shown]
	v_accvgpr_write_b32 a53, v0
	v_mul_u32_u24_e32 v0, 5, v202
	v_and_b32_e32 v32, 0xfe, v32
	v_fmac_f64_e32 v[10:11], s[10:11], v[14:15]
	v_lshl_add_u32 v0, v0, 4, v226
	v_lshlrev_b32_e32 v32, 4, v32
	v_fmac_f64_e32 v[78:79], s[10:11], v[14:15]
	ds_write_b128 v0, v[60:63]
	ds_write_b128 v0, v[68:71] offset:16
	ds_write_b128 v0, v[76:79] offset:32
	;; [unrolled: 1-line block ×4, first 2 shown]
	v_accvgpr_write_b32 a52, v0
	s_waitcnt lgkmcnt(0)
	s_barrier
	ds_read_b128 v[108:111], v42
	ds_read_b128 v[34:37], v42 offset:2160
	ds_read_b128 v[68:71], v42 offset:4320
	;; [unrolled: 1-line block ×14, first 2 shown]
	global_load_dwordx4 v[60:63], v32, s[6:7] offset:16
	global_load_dwordx4 v[64:67], v32, s[6:7]
	v_mul_lo_u16_sdwa v45, v200, s2 dst_sel:DWORD dst_unused:UNUSED_PAD src0_sel:BYTE_0 src1_sel:DWORD
	v_lshrrev_b16_e32 v140, 10, v45
	v_mul_lo_u16_e32 v45, 5, v140
	v_sub_u16_e32 v141, v200, v45
	v_mov_b32_e32 v45, 5
	v_lshlrev_b32_sdwa v72, v45, v141 dst_sel:DWORD dst_unused:UNUSED_PAD src0_sel:DWORD src1_sel:BYTE_0
	s_waitcnt vmcnt(1) lgkmcnt(12)
	v_mul_f64 v[38:39], v[68:69], v[62:63]
	s_waitcnt vmcnt(0)
	v_mul_f64 v[32:33], v[36:37], v[66:67]
	v_fma_f64 v[32:33], v[34:35], v[64:65], -v[32:33]
	v_mul_f64 v[34:35], v[34:35], v[66:67]
	v_fmac_f64_e32 v[34:35], v[36:37], v[64:65]
	v_mul_f64 v[36:37], v[70:71], v[62:63]
	v_fma_f64 v[36:37], v[68:69], v[60:61], -v[36:37]
	v_fmac_f64_e32 v[38:39], v[70:71], v[60:61]
	global_load_dwordx4 v[68:71], v72, s[6:7] offset:16
	s_nop 0
	global_load_dwordx4 v[72:75], v72, s[6:7]
	s_waitcnt vmcnt(1) lgkmcnt(9)
	v_mul_f64 v[118:119], v[24:25], v[70:71]
	s_waitcnt vmcnt(0)
	v_mul_f64 v[76:77], v[30:31], v[74:75]
	v_fma_f64 v[116:117], v[28:29], v[72:73], -v[76:77]
	v_mul_f64 v[28:29], v[28:29], v[74:75]
	v_fmac_f64_e32 v[28:29], v[30:31], v[72:73]
	v_mul_f64 v[30:31], v[26:27], v[70:71]
	v_fma_f64 v[30:31], v[24:25], v[68:69], -v[30:31]
	v_mul_lo_u16_sdwa v24, v202, s2 dst_sel:DWORD dst_unused:UNUSED_PAD src0_sel:BYTE_0 src1_sel:DWORD
	v_lshrrev_b16_e32 v142, 10, v24
	v_mul_lo_u16_e32 v24, 5, v142
	v_sub_u16_e32 v143, v202, v24
	v_lshlrev_b32_sdwa v24, v45, v143 dst_sel:DWORD dst_unused:UNUSED_PAD src0_sel:DWORD src1_sel:BYTE_0
	global_load_dwordx4 v[76:79], v24, s[6:7] offset:16
	global_load_dwordx4 v[80:83], v24, s[6:7]
	v_fmac_f64_e32 v[118:119], v[26:27], v[68:69]
	s_waitcnt vmcnt(1) lgkmcnt(6)
	v_mul_f64 v[130:131], v[16:17], v[78:79]
	s_waitcnt vmcnt(0)
	v_mul_f64 v[24:25], v[22:23], v[82:83]
	v_fma_f64 v[124:125], v[20:21], v[80:81], -v[24:25]
	v_mul_f64 v[126:127], v[20:21], v[82:83]
	v_mul_f64 v[20:21], v[18:19], v[78:79]
	v_fma_f64 v[128:129], v[16:17], v[76:77], -v[20:21]
	v_mul_lo_u16_sdwa v16, v204, s2 dst_sel:DWORD dst_unused:UNUSED_PAD src0_sel:BYTE_0 src1_sel:DWORD
	v_lshrrev_b16_e32 v144, 10, v16
	v_mul_lo_u16_e32 v16, 5, v144
	v_sub_u16_e32 v145, v204, v16
	v_lshlrev_b32_sdwa v16, v45, v145 dst_sel:DWORD dst_unused:UNUSED_PAD src0_sel:DWORD src1_sel:BYTE_0
	global_load_dwordx4 v[92:95], v16, s[6:7] offset:16
	global_load_dwordx4 v[96:99], v16, s[6:7]
	v_fmac_f64_e32 v[126:127], v[22:23], v[80:81]
	v_fmac_f64_e32 v[130:131], v[18:19], v[76:77]
	s_waitcnt vmcnt(1) lgkmcnt(3)
	v_mul_f64 v[138:139], v[8:9], v[94:95]
	s_waitcnt vmcnt(0)
	v_mul_f64 v[16:17], v[14:15], v[98:99]
	v_fma_f64 v[132:133], v[12:13], v[96:97], -v[16:17]
	v_mul_f64 v[134:135], v[12:13], v[98:99]
	v_mul_f64 v[12:13], v[10:11], v[94:95]
	v_fma_f64 v[136:137], v[8:9], v[92:93], -v[12:13]
	v_mul_lo_u16_sdwa v8, v212, s2 dst_sel:DWORD dst_unused:UNUSED_PAD src0_sel:BYTE_0 src1_sel:DWORD
	v_lshrrev_b16_e32 v146, 10, v8
	v_mul_lo_u16_e32 v8, 5, v146
	v_sub_u16_e32 v147, v212, v8
	v_lshlrev_b32_sdwa v8, v45, v147 dst_sel:DWORD dst_unused:UNUSED_PAD src0_sel:DWORD src1_sel:BYTE_0
	global_load_dwordx4 v[112:115], v8, s[6:7] offset:16
	global_load_dwordx4 v[120:123], v8, s[6:7]
	s_mov_b32 s2, s4
	v_fmac_f64_e32 v[134:135], v[14:15], v[96:97]
	v_fmac_f64_e32 v[138:139], v[10:11], v[92:93]
	s_waitcnt lgkmcnt(0)
	s_barrier
	s_waitcnt vmcnt(1)
	v_mul_f64 v[158:159], v[0:1], v[114:115]
	s_waitcnt vmcnt(0)
	v_mul_f64 v[8:9], v[6:7], v[122:123]
	v_fma_f64 v[152:153], v[4:5], v[120:121], -v[8:9]
	v_mul_f64 v[154:155], v[4:5], v[122:123]
	v_mul_f64 v[4:5], v[2:3], v[114:115]
	v_fma_f64 v[156:157], v[0:1], v[112:113], -v[4:5]
	v_add_f64 v[0:1], v[108:109], v[32:33]
	v_add_f64 v[148:149], v[0:1], v[36:37]
	v_add_f64 v[0:1], v[32:33], v[36:37]
	v_fmac_f64_e32 v[108:109], -0.5, v[0:1]
	v_add_f64 v[0:1], v[34:35], -v[38:39]
	v_fma_f64 v[24:25], s[4:5], v[0:1], v[108:109]
	v_fmac_f64_e32 v[108:109], s[2:3], v[0:1]
	v_add_f64 v[0:1], v[110:111], v[34:35]
	v_add_f64 v[150:151], v[0:1], v[38:39]
	v_add_f64 v[0:1], v[34:35], v[38:39]
	v_fmac_f64_e32 v[110:111], -0.5, v[0:1]
	v_add_f64 v[0:1], v[32:33], -v[36:37]
	v_fma_f64 v[26:27], s[2:3], v[0:1], v[110:111]
	v_fmac_f64_e32 v[110:111], s[4:5], v[0:1]
	;; [unrolled: 7-line block ×8, first 2 shown]
	v_add_f64 v[0:1], v[84:85], v[152:153]
	v_fmac_f64_e32 v[154:155], v[6:7], v[120:121]
	v_fmac_f64_e32 v[158:159], v[2:3], v[112:113]
	v_add_f64 v[4:5], v[0:1], v[156:157]
	v_add_f64 v[0:1], v[152:153], v[156:157]
	v_fmac_f64_e32 v[84:85], -0.5, v[0:1]
	v_add_f64 v[2:3], v[154:155], -v[158:159]
	v_fma_f64 v[0:1], s[4:5], v[2:3], v[84:85]
	v_fmac_f64_e32 v[84:85], s[2:3], v[2:3]
	v_add_f64 v[2:3], v[86:87], v[154:155]
	v_add_f64 v[6:7], v[2:3], v[158:159]
	v_add_f64 v[2:3], v[154:155], v[158:159]
	v_fmac_f64_e32 v[86:87], -0.5, v[2:3]
	v_add_f64 v[28:29], v[152:153], -v[156:157]
	v_fma_f64 v[2:3], s[2:3], v[28:29], v[86:87]
	v_fmac_f64_e32 v[86:87], s[4:5], v[28:29]
	v_mad_legacy_u16 v28, v46, 15, v47
	v_and_b32_e32 v28, 0xff, v28
	v_lshl_add_u32 v28, v28, 4, v226
	ds_write_b128 v28, v[148:151]
	ds_write_b128 v28, v[24:27] offset:80
	ds_write_b128 v28, v[108:111] offset:160
	v_mul_lo_u16_e32 v24, 15, v140
	v_add_u32_sdwa v24, v24, v141 dst_sel:DWORD dst_unused:UNUSED_PAD src0_sel:BYTE_0 src1_sel:BYTE_0
	v_lshl_add_u32 v24, v24, 4, v226
	ds_write_b128 v24, v[32:35]
	ds_write_b128 v24, v[36:39] offset:80
	ds_write_b128 v24, v[104:107] offset:160
	v_accvgpr_write_b32 a54, v24
	v_mul_u32_u24_e32 v24, 15, v142
	v_add_u32_sdwa v24, v24, v143 dst_sel:DWORD dst_unused:UNUSED_PAD src0_sel:DWORD src1_sel:BYTE_0
	v_lshl_add_u32 v24, v24, 4, v226
	ds_write_b128 v24, v[20:23]
	ds_write_b128 v24, v[16:19] offset:80
	ds_write_b128 v24, v[100:103] offset:160
	v_mul_u32_u24_e32 v16, 15, v144
	v_add_u32_sdwa v16, v16, v145 dst_sel:DWORD dst_unused:UNUSED_PAD src0_sel:DWORD src1_sel:BYTE_0
	v_lshl_add_u32 v16, v16, 4, v226
	v_lshl_add_u64 v[46:47], v[40:41], 0, -15
	ds_write_b128 v16, v[12:15]
	ds_write_b128 v16, v[8:11] offset:80
	ds_write_b128 v16, v[88:91] offset:160
	v_mul_u32_u24_e32 v8, 15, v146
	v_cndmask_b32_e64 v153, v47, 0, vcc
	v_cndmask_b32_e32 v152, v46, v40, vcc
	v_add_u32_sdwa v8, v8, v147 dst_sel:DWORD dst_unused:UNUSED_PAD src0_sel:DWORD src1_sel:BYTE_0
	v_lshlrev_b64 v[46:47], 5, v[152:153]
	v_lshl_add_u32 v8, v8, 4, v226
	v_lshl_add_u64 v[46:47], s[6:7], 0, v[46:47]
	v_accvgpr_write_b32 a58, v28
	v_accvgpr_write_b32 a56, v24
	;; [unrolled: 1-line block ×3, first 2 shown]
	ds_write_b128 v8, v[4:7]
	ds_write_b128 v8, v[0:3] offset:80
	ds_write_b128 v8, v[84:87] offset:160
	v_accvgpr_write_b32 a55, v8
	s_waitcnt lgkmcnt(0)
	s_barrier
	ds_read_b128 v[4:7], v42
	ds_read_b128 v[100:103], v42 offset:2160
	ds_read_b128 v[104:107], v42 offset:4320
	;; [unrolled: 1-line block ×14, first 2 shown]
	global_load_dwordx4 v[84:87], v[46:47], off offset:176
	global_load_dwordx4 v[88:91], v[46:47], off offset:160
	v_cmp_lt_u16_e32 vcc, 14, v40
	s_waitcnt vmcnt(1) lgkmcnt(12)
	v_mul_f64 v[160:161], v[104:105], v[86:87]
	s_waitcnt vmcnt(0)
	v_mul_f64 v[46:47], v[102:103], v[90:91]
	v_fma_f64 v[154:155], v[100:101], v[88:89], -v[46:47]
	v_mul_f64 v[46:47], v[106:107], v[86:87]
	v_fma_f64 v[158:159], v[104:105], v[84:85], -v[46:47]
	v_mul_lo_u16_sdwa v46, v200, s18 dst_sel:DWORD dst_unused:UNUSED_PAD src0_sel:BYTE_0 src1_sel:DWORD
	v_lshrrev_b16_e32 v46, 11, v46
	v_mul_lo_u16_e32 v47, 15, v46
	v_sub_u16_e32 v47, v200, v47
	v_mul_f64 v[156:157], v[100:101], v[90:91]
	v_lshlrev_b32_sdwa v104, v45, v47 dst_sel:DWORD dst_unused:UNUSED_PAD src0_sel:DWORD src1_sel:BYTE_0
	v_fmac_f64_e32 v[156:157], v[102:103], v[88:89]
	v_fmac_f64_e32 v[160:161], v[106:107], v[84:85]
	global_load_dwordx4 v[100:103], v104, s[6:7] offset:176
	s_nop 0
	global_load_dwordx4 v[104:107], v104, s[6:7] offset:160
	s_waitcnt vmcnt(0) lgkmcnt(10)
	v_mul_f64 v[108:109], v[38:39], v[106:107]
	v_fma_f64 v[162:163], v[36:37], v[104:105], -v[108:109]
	v_mul_f64 v[36:37], v[36:37], v[106:107]
	v_fmac_f64_e32 v[36:37], v[38:39], v[104:105]
	s_waitcnt lgkmcnt(9)
	v_mul_f64 v[38:39], v[34:35], v[102:103]
	v_fma_f64 v[38:39], v[32:33], v[100:101], -v[38:39]
	v_mul_f64 v[32:33], v[32:33], v[102:103]
	v_fmac_f64_e32 v[32:33], v[34:35], v[100:101]
	v_mul_lo_u16_sdwa v34, v202, s18 dst_sel:DWORD dst_unused:UNUSED_PAD src0_sel:BYTE_0 src1_sel:DWORD
	v_lshrrev_b16_e32 v153, 11, v34
	v_mul_lo_u16_e32 v34, 15, v153
	v_sub_u16_e32 v170, v202, v34
	v_lshlrev_b32_sdwa v34, v45, v170 dst_sel:DWORD dst_unused:UNUSED_PAD src0_sel:DWORD src1_sel:BYTE_0
	global_load_dwordx4 v[108:111], v34, s[6:7] offset:176
	global_load_dwordx4 v[116:119], v34, s[6:7] offset:160
	s_waitcnt vmcnt(1) lgkmcnt(6)
	v_mul_f64 v[168:169], v[24:25], v[110:111]
	s_waitcnt vmcnt(0)
	v_mul_f64 v[34:35], v[30:31], v[118:119]
	v_fma_f64 v[34:35], v[28:29], v[116:117], -v[34:35]
	v_mul_f64 v[164:165], v[28:29], v[118:119]
	v_mul_f64 v[28:29], v[26:27], v[110:111]
	v_fma_f64 v[166:167], v[24:25], v[108:109], -v[28:29]
	v_mul_lo_u16_sdwa v24, v204, s18 dst_sel:DWORD dst_unused:UNUSED_PAD src0_sel:BYTE_0 src1_sel:DWORD
	v_lshrrev_b16_e32 v171, 11, v24
	v_mul_lo_u16_e32 v24, 15, v171
	v_sub_u16_e32 v172, v204, v24
	v_lshlrev_b32_sdwa v24, v45, v172 dst_sel:DWORD dst_unused:UNUSED_PAD src0_sel:DWORD src1_sel:BYTE_0
	global_load_dwordx4 v[124:127], v24, s[6:7] offset:176
	global_load_dwordx4 v[128:131], v24, s[6:7] offset:160
	v_fmac_f64_e32 v[164:165], v[30:31], v[116:117]
	v_fmac_f64_e32 v[168:169], v[26:27], v[108:109]
	s_waitcnt vmcnt(1) lgkmcnt(3)
	v_mul_f64 v[188:189], v[16:17], v[126:127]
	s_waitcnt vmcnt(0)
	v_mul_f64 v[24:25], v[22:23], v[130:131]
	v_fma_f64 v[182:183], v[20:21], v[128:129], -v[24:25]
	v_mul_f64 v[184:185], v[20:21], v[130:131]
	v_mul_f64 v[20:21], v[18:19], v[126:127]
	v_fma_f64 v[186:187], v[16:17], v[124:125], -v[20:21]
	v_mul_lo_u16_sdwa v16, v212, s18 dst_sel:DWORD dst_unused:UNUSED_PAD src0_sel:BYTE_0 src1_sel:DWORD
	v_lshrrev_b16_e32 v173, 11, v16
	v_mul_lo_u16_e32 v16, 15, v173
	v_sub_u16_e32 v198, v212, v16
	v_lshlrev_b32_sdwa v16, v45, v198 dst_sel:DWORD dst_unused:UNUSED_PAD src0_sel:DWORD src1_sel:BYTE_0
	global_load_dwordx4 v[132:135], v16, s[6:7] offset:176
	global_load_dwordx4 v[136:139], v16, s[6:7] offset:160
	v_fmac_f64_e32 v[184:185], v[22:23], v[128:129]
	v_fmac_f64_e32 v[188:189], v[18:19], v[124:125]
	s_waitcnt lgkmcnt(0)
	s_barrier
	s_movk_i32 s18, 0xffee
	s_mov_b32 s19, -1
	s_waitcnt vmcnt(1)
	v_mul_f64 v[196:197], v[8:9], v[134:135]
	s_waitcnt vmcnt(0)
	v_mul_f64 v[16:17], v[14:15], v[138:139]
	v_fma_f64 v[190:191], v[12:13], v[136:137], -v[16:17]
	v_mul_f64 v[192:193], v[12:13], v[138:139]
	v_mul_f64 v[12:13], v[10:11], v[134:135]
	v_fma_f64 v[194:195], v[8:9], v[132:133], -v[12:13]
	v_add_f64 v[8:9], v[4:5], v[154:155]
	v_add_f64 v[174:175], v[8:9], v[158:159]
	v_add_f64 v[8:9], v[154:155], v[158:159]
	v_fmac_f64_e32 v[4:5], -0.5, v[8:9]
	v_add_f64 v[8:9], v[156:157], -v[160:161]
	v_fma_f64 v[178:179], s[4:5], v[8:9], v[4:5]
	v_fmac_f64_e32 v[4:5], s[2:3], v[8:9]
	v_add_f64 v[8:9], v[6:7], v[156:157]
	v_add_f64 v[176:177], v[8:9], v[160:161]
	v_add_f64 v[8:9], v[156:157], v[160:161]
	v_fmac_f64_e32 v[6:7], -0.5, v[8:9]
	v_add_f64 v[8:9], v[154:155], -v[158:159]
	v_fma_f64 v[180:181], s[2:3], v[8:9], v[6:7]
	v_fmac_f64_e32 v[6:7], s[4:5], v[8:9]
	;; [unrolled: 7-line block ×8, first 2 shown]
	v_add_f64 v[8:9], v[140:141], v[190:191]
	v_fmac_f64_e32 v[192:193], v[14:15], v[136:137]
	v_fmac_f64_e32 v[196:197], v[10:11], v[132:133]
	v_add_f64 v[12:13], v[8:9], v[194:195]
	v_add_f64 v[8:9], v[190:191], v[194:195]
	v_fmac_f64_e32 v[140:141], -0.5, v[8:9]
	v_add_f64 v[10:11], v[192:193], -v[196:197]
	v_fma_f64 v[8:9], s[4:5], v[10:11], v[140:141]
	v_fmac_f64_e32 v[140:141], s[2:3], v[10:11]
	v_add_f64 v[10:11], v[142:143], v[192:193]
	v_add_f64 v[14:15], v[10:11], v[196:197]
	v_add_f64 v[10:11], v[192:193], v[196:197]
	v_fmac_f64_e32 v[142:143], -0.5, v[10:11]
	v_add_f64 v[32:33], v[190:191], -v[194:195]
	v_fma_f64 v[10:11], s[2:3], v[32:33], v[142:143]
	v_fmac_f64_e32 v[142:143], s[4:5], v[32:33]
	v_cndmask_b32_e64 v32, 0, 45, vcc
	v_add_u32_e32 v32, v152, v32
	v_lshl_add_u32 v32, v32, 4, v226
	ds_write_b128 v32, v[174:177]
	ds_write_b128 v32, v[178:181] offset:240
	ds_write_b128 v32, v[4:7] offset:480
	v_mul_u32_u24_e32 v4, 45, v46
	v_add_u32_sdwa v4, v4, v47 dst_sel:DWORD dst_unused:UNUSED_PAD src0_sel:DWORD src1_sel:BYTE_0
	v_lshl_add_u32 v4, v4, 4, v226
	ds_write_b128 v4, v[154:157]
	ds_write_b128 v4, v[158:161] offset:240
	ds_write_b128 v4, v[0:3] offset:480
	v_mul_u32_u24_e32 v0, 45, v153
	v_add_u32_sdwa v0, v0, v170 dst_sel:DWORD dst_unused:UNUSED_PAD src0_sel:DWORD src1_sel:BYTE_0
	v_lshl_add_u32 v0, v0, 4, v226
	ds_write_b128 v0, v[28:31]
	ds_write_b128 v0, v[24:27] offset:240
	ds_write_b128 v0, v[148:151] offset:480
	v_accvgpr_write_b32 a61, v0
	v_mul_u32_u24_e32 v0, 45, v171
	v_add_u32_sdwa v0, v0, v172 dst_sel:DWORD dst_unused:UNUSED_PAD src0_sel:DWORD src1_sel:BYTE_0
	v_lshl_add_u32 v0, v0, 4, v226
	ds_write_b128 v0, v[20:23]
	ds_write_b128 v0, v[16:19] offset:240
	ds_write_b128 v0, v[144:147] offset:480
	v_accvgpr_write_b32 a62, v0
	v_mul_u32_u24_e32 v0, 45, v173
	v_add_u32_sdwa v0, v0, v198 dst_sel:DWORD dst_unused:UNUSED_PAD src0_sel:DWORD src1_sel:BYTE_0
	v_lshl_add_u32 v47, v0, 4, v226
	v_accvgpr_write_b32 a59, v32
	v_accvgpr_write_b32 a60, v4
	ds_write_b128 v47, v[12:15]
	ds_write_b128 v47, v[8:11] offset:240
	ds_write_b128 v47, v[140:143] offset:480
	s_waitcnt lgkmcnt(0)
	s_barrier
	ds_read_b128 v[196:199], v42
	ds_read_b128 v[26:29], v42 offset:2160
	ds_read_b128 v[30:33], v42 offset:4320
	;; [unrolled: 1-line block ×14, first 2 shown]
	global_load_dwordx4 v[140:143], v203, s[6:7] offset:656
	global_load_dwordx4 v[144:147], v203, s[6:7] offset:640
	v_cmp_gt_u16_e32 vcc, 18, v40
	s_waitcnt vmcnt(0) lgkmcnt(13)
	v_mul_f64 v[24:25], v[28:29], v[146:147]
	v_fma_f64 v[24:25], v[26:27], v[144:145], -v[24:25]
	v_mul_f64 v[26:27], v[26:27], v[146:147]
	v_fmac_f64_e32 v[26:27], v[28:29], v[144:145]
	s_waitcnt lgkmcnt(12)
	v_mul_f64 v[28:29], v[32:33], v[142:143]
	v_fma_f64 v[28:29], v[30:31], v[140:141], -v[28:29]
	v_mul_f64 v[30:31], v[30:31], v[142:143]
	v_fmac_f64_e32 v[30:31], v[32:33], v[140:141]
	v_lshl_add_u64 v[32:33], v[40:41], 0, s[18:19]
	v_cndmask_b32_e32 v207, v33, v201, vcc
	v_cndmask_b32_e32 v206, v32, v200, vcc
	v_lshlrev_b64 v[32:33], 5, v[206:207]
	v_lshl_add_u64 v[32:33], s[6:7], 0, v[32:33]
	global_load_dwordx4 v[148:151], v[32:33], off offset:656
	global_load_dwordx4 v[152:155], v[32:33], off offset:640
	s_movk_i32 s18, 0x6d
	v_cmp_lt_u16_e32 vcc, 17, v40
	s_waitcnt vmcnt(1) lgkmcnt(9)
	v_mul_f64 v[216:217], v[156:157], v[150:151]
	s_waitcnt vmcnt(0)
	v_mul_f64 v[32:33], v[36:37], v[154:155]
	v_fma_f64 v[208:209], v[34:35], v[152:153], -v[32:33]
	v_mul_f64 v[32:33], v[158:159], v[150:151]
	v_fma_f64 v[214:215], v[156:157], v[148:149], -v[32:33]
	v_fmac_f64_e32 v[216:217], v[158:159], v[148:149]
	global_load_dwordx4 v[156:159], v203, s[6:7] offset:944
	global_load_dwordx4 v[160:163], v203, s[6:7] offset:928
	v_mul_f64 v[210:211], v[34:35], v[154:155]
	v_fmac_f64_e32 v[210:211], v[36:37], v[152:153]
	s_waitcnt vmcnt(1) lgkmcnt(6)
	v_mul_f64 v[224:225], v[16:17], v[158:159]
	s_waitcnt vmcnt(0)
	v_mul_f64 v[32:33], v[22:23], v[162:163]
	v_fma_f64 v[218:219], v[20:21], v[160:161], -v[32:33]
	v_mul_f64 v[220:221], v[20:21], v[162:163]
	v_mul_f64 v[20:21], v[18:19], v[158:159]
	v_fma_f64 v[222:223], v[16:17], v[156:157], -v[20:21]
	v_mul_lo_u16_sdwa v16, v204, s18 dst_sel:DWORD dst_unused:UNUSED_PAD src0_sel:BYTE_0 src1_sel:DWORD
	v_sub_u16_sdwa v17, v204, v16 dst_sel:DWORD dst_unused:UNUSED_PAD src0_sel:DWORD src1_sel:BYTE_1
	v_lshrrev_b16_e32 v17, 1, v17
	v_and_b32_e32 v17, 0x7f, v17
	v_add_u16_sdwa v16, v17, v16 dst_sel:DWORD dst_unused:UNUSED_PAD src0_sel:DWORD src1_sel:BYTE_1
	v_lshrrev_b16_e32 v41, 5, v16
	v_mul_lo_u16_e32 v16, 45, v41
	v_sub_u16_e32 v201, v204, v16
	v_lshlrev_b32_sdwa v16, v45, v201 dst_sel:DWORD dst_unused:UNUSED_PAD src0_sel:DWORD src1_sel:BYTE_0
	global_load_dwordx4 v[164:167], v16, s[6:7] offset:656
	global_load_dwordx4 v[168:171], v16, s[6:7] offset:640
	v_fmac_f64_e32 v[220:221], v[22:23], v[160:161]
	v_fmac_f64_e32 v[224:225], v[18:19], v[156:157]
	s_waitcnt vmcnt(1) lgkmcnt(3)
	v_mul_f64 v[234:235], v[8:9], v[166:167]
	s_waitcnt vmcnt(0)
	v_mul_f64 v[16:17], v[14:15], v[170:171]
	v_fma_f64 v[228:229], v[12:13], v[168:169], -v[16:17]
	v_mul_f64 v[230:231], v[12:13], v[170:171]
	v_mul_f64 v[12:13], v[10:11], v[166:167]
	v_fma_f64 v[232:233], v[8:9], v[164:165], -v[12:13]
	v_mul_lo_u16_sdwa v8, v212, s18 dst_sel:DWORD dst_unused:UNUSED_PAD src0_sel:BYTE_0 src1_sel:DWORD
	v_sub_u16_sdwa v9, v212, v8 dst_sel:DWORD dst_unused:UNUSED_PAD src0_sel:DWORD src1_sel:BYTE_1
	v_lshrrev_b16_e32 v9, 1, v9
	v_and_b32_e32 v9, 0x7f, v9
	v_add_u16_sdwa v8, v9, v8 dst_sel:DWORD dst_unused:UNUSED_PAD src0_sel:DWORD src1_sel:BYTE_1
	v_lshrrev_b16_e32 v8, 5, v8
	v_mul_lo_u16_e32 v8, 45, v8
	v_sub_u16_e32 v8, v212, v8
	v_and_b32_e32 v205, 0xff, v8
	v_lshlrev_b32_e32 v8, 5, v205
	global_load_dwordx4 v[172:175], v8, s[6:7] offset:656
	global_load_dwordx4 v[176:179], v8, s[6:7] offset:640
	v_fmac_f64_e32 v[230:231], v[14:15], v[168:169]
	v_fmac_f64_e32 v[234:235], v[10:11], v[164:165]
	s_waitcnt lgkmcnt(0)
	s_barrier
	s_waitcnt vmcnt(1)
	v_mul_f64 v[244:245], v[0:1], v[174:175]
	s_waitcnt vmcnt(0)
	v_mul_f64 v[8:9], v[6:7], v[178:179]
	v_fma_f64 v[236:237], v[4:5], v[176:177], -v[8:9]
	v_mul_f64 v[238:239], v[4:5], v[178:179]
	v_mul_f64 v[4:5], v[2:3], v[174:175]
	v_fma_f64 v[242:243], v[0:1], v[172:173], -v[4:5]
	v_add_f64 v[0:1], v[196:197], v[24:25]
	v_add_f64 v[36:37], v[0:1], v[28:29]
	v_add_f64 v[0:1], v[24:25], v[28:29]
	v_fmac_f64_e32 v[196:197], -0.5, v[0:1]
	v_add_f64 v[0:1], v[26:27], -v[30:31]
	v_fma_f64 v[32:33], s[4:5], v[0:1], v[196:197]
	v_fmac_f64_e32 v[196:197], s[2:3], v[0:1]
	v_add_f64 v[0:1], v[198:199], v[26:27]
	v_add_f64 v[38:39], v[0:1], v[30:31]
	v_add_f64 v[0:1], v[26:27], v[30:31]
	v_fmac_f64_e32 v[198:199], -0.5, v[0:1]
	v_add_f64 v[0:1], v[24:25], -v[28:29]
	v_fma_f64 v[34:35], s[2:3], v[0:1], v[198:199]
	v_fmac_f64_e32 v[198:199], s[4:5], v[0:1]
	;; [unrolled: 7-line block ×8, first 2 shown]
	v_add_f64 v[0:1], v[180:181], v[236:237]
	ds_write_b128 v42, v[36:39]
	ds_write_b128 v42, v[32:35] offset:720
	ds_write_b128 v42, v[196:199] offset:1440
	v_mov_b32_e32 v32, 0x87
	v_fmac_f64_e32 v[238:239], v[6:7], v[176:177]
	v_fmac_f64_e32 v[244:245], v[2:3], v[172:173]
	v_add_f64 v[4:5], v[0:1], v[242:243]
	v_add_f64 v[0:1], v[236:237], v[242:243]
	v_cndmask_b32_e32 v32, 0, v32, vcc
	v_fmac_f64_e32 v[180:181], -0.5, v[0:1]
	v_add_f64 v[2:3], v[238:239], -v[244:245]
	v_add_u32_e32 v32, v206, v32
	v_fma_f64 v[0:1], s[4:5], v[2:3], v[180:181]
	v_fmac_f64_e32 v[180:181], s[2:3], v[2:3]
	v_add_f64 v[2:3], v[182:183], v[238:239]
	v_lshl_add_u32 v46, v32, 4, v226
	v_add_f64 v[6:7], v[2:3], v[244:245]
	v_add_f64 v[2:3], v[238:239], v[244:245]
	ds_write_b128 v46, v[28:31]
	ds_write_b128 v46, v[24:27] offset:720
	ds_write_b128 v46, v[192:195] offset:1440
	ds_write_b128 v42, v[20:23] offset:2304
	ds_write_b128 v42, v[16:19] offset:3024
	ds_write_b128 v42, v[188:191] offset:3744
	v_mul_u32_u24_e32 v16, 0x87, v41
	v_fmac_f64_e32 v[182:183], -0.5, v[2:3]
	v_add_f64 v[208:209], v[236:237], -v[242:243]
	v_add_u32_sdwa v16, v16, v201 dst_sel:DWORD dst_unused:UNUSED_PAD src0_sel:DWORD src1_sel:BYTE_0
	v_fma_f64 v[2:3], s[2:3], v[208:209], v[182:183]
	v_fmac_f64_e32 v[182:183], s[4:5], v[208:209]
	v_lshl_add_u32 v45, v16, 4, v226
	v_lshl_add_u32 v41, v205, 4, v226
	ds_write_b128 v45, v[12:15]
	ds_write_b128 v45, v[8:11] offset:720
	ds_write_b128 v45, v[184:187] offset:1440
	;; [unrolled: 1-line block ×5, first 2 shown]
	s_waitcnt lgkmcnt(0)
	s_barrier
	ds_read_b128 v[0:3], v42
	ds_read_b128 v[188:191], v42 offset:2160
	ds_read_b128 v[192:195], v42 offset:4320
	;; [unrolled: 1-line block ×14, first 2 shown]
	global_load_dwordx4 v[180:183], v203, s[6:7] offset:2096
	global_load_dwordx4 v[184:187], v203, s[6:7] offset:2080
	v_lshlrev_b32_e32 v4, 5, v200
	s_waitcnt vmcnt(1) lgkmcnt(12)
	v_mul_f64 v[244:245], v[192:193], v[182:183]
	s_waitcnt vmcnt(0)
	v_mul_f64 v[36:37], v[190:191], v[186:187]
	v_fma_f64 v[36:37], v[188:189], v[184:185], -v[36:37]
	v_mul_f64 v[38:39], v[188:189], v[186:187]
	v_mul_f64 v[188:189], v[194:195], v[182:183]
	v_fmac_f64_e32 v[38:39], v[190:191], v[184:185]
	v_fma_f64 v[242:243], v[192:193], v[180:181], -v[188:189]
	v_fmac_f64_e32 v[244:245], v[194:195], v[180:181]
	global_load_dwordx4 v[188:191], v4, s[6:7] offset:2096
	global_load_dwordx4 v[192:195], v4, s[6:7] offset:2080
	v_lshlrev_b32_e32 v4, 5, v202
	s_waitcnt vmcnt(1) lgkmcnt(9)
	v_mul_f64 v[254:255], v[28:29], v[190:191]
	s_waitcnt vmcnt(0)
	v_mul_f64 v[196:197], v[34:35], v[194:195]
	v_fma_f64 v[248:249], v[32:33], v[192:193], -v[196:197]
	global_load_dwordx4 v[196:199], v4, s[6:7] offset:2096
	global_load_dwordx4 v[200:203], v4, s[6:7] offset:2080
	v_lshlrev_b32_e32 v4, 5, v204
	global_load_dwordx4 v[204:207], v4, s[6:7] offset:2096
	global_load_dwordx4 v[208:211], v4, s[6:7] offset:2080
	v_lshlrev_b32_e32 v4, 5, v212
	global_load_dwordx4 v[212:215], v4, s[6:7] offset:2096
	global_load_dwordx4 v[216:219], v4, s[6:7] offset:2080
	v_mul_f64 v[250:251], v[32:33], v[194:195]
	v_mul_f64 v[32:33], v[30:31], v[190:191]
	v_fma_f64 v[252:253], v[28:29], v[188:189], -v[32:33]
	v_fmac_f64_e32 v[254:255], v[30:31], v[188:189]
	v_add_f64 v[4:5], v[0:1], v[36:37]
	v_fmac_f64_e32 v[250:251], v[34:35], v[192:193]
	s_mov_b64 s[6:7], 0x1950
	s_waitcnt vmcnt(4) lgkmcnt(7)
	v_mul_f64 v[28:29], v[26:27], v[202:203]
	v_fma_f64 v[28:29], v[24:25], v[200:201], -v[28:29]
	v_mul_f64 v[30:31], v[24:25], v[202:203]
	s_waitcnt lgkmcnt(6)
	v_mul_f64 v[24:25], v[22:23], v[198:199]
	v_fmac_f64_e32 v[30:31], v[26:27], v[200:201]
	v_fma_f64 v[24:25], v[20:21], v[196:197], -v[24:25]
	v_mul_f64 v[26:27], v[20:21], v[198:199]
	s_waitcnt vmcnt(2) lgkmcnt(4)
	v_mul_f64 v[20:21], v[18:19], v[210:211]
	v_fma_f64 v[20:21], v[16:17], v[208:209], -v[20:21]
	v_mul_f64 v[16:17], v[16:17], v[210:211]
	v_fmac_f64_e32 v[16:17], v[18:19], v[208:209]
	s_waitcnt lgkmcnt(3)
	v_mul_f64 v[18:19], v[14:15], v[206:207]
	v_fma_f64 v[18:19], v[12:13], v[204:205], -v[18:19]
	v_mul_f64 v[12:13], v[12:13], v[206:207]
	v_fmac_f64_e32 v[12:13], v[14:15], v[204:205]
	s_waitcnt vmcnt(0) lgkmcnt(1)
	v_mul_f64 v[14:15], v[10:11], v[218:219]
	v_fma_f64 v[14:15], v[8:9], v[216:217], -v[14:15]
	v_mul_f64 v[8:9], v[8:9], v[218:219]
	v_fmac_f64_e32 v[8:9], v[10:11], v[216:217]
	s_waitcnt lgkmcnt(0)
	v_mul_f64 v[10:11], v[238:239], v[214:215]
	v_fma_f64 v[10:11], v[236:237], v[212:213], -v[10:11]
	v_mul_f64 v[6:7], v[236:237], v[214:215]
	v_add_f64 v[236:237], v[4:5], v[242:243]
	v_add_f64 v[4:5], v[36:37], v[242:243]
	v_fmac_f64_e32 v[0:1], -0.5, v[4:5]
	v_add_f64 v[4:5], v[38:39], -v[244:245]
	v_fma_f64 v[32:33], s[4:5], v[4:5], v[0:1]
	v_fmac_f64_e32 v[0:1], s[2:3], v[4:5]
	v_add_f64 v[4:5], v[2:3], v[38:39]
	v_fmac_f64_e32 v[6:7], v[238:239], v[212:213]
	v_add_f64 v[238:239], v[4:5], v[244:245]
	v_add_f64 v[4:5], v[38:39], v[244:245]
	v_fmac_f64_e32 v[2:3], -0.5, v[4:5]
	v_add_f64 v[4:5], v[36:37], -v[242:243]
	v_fma_f64 v[34:35], s[2:3], v[4:5], v[2:3]
	v_fmac_f64_e32 v[2:3], s[4:5], v[4:5]
	v_add_f64 v[4:5], v[232:233], v[248:249]
	v_add_f64 v[36:37], v[4:5], v[252:253]
	v_add_f64 v[4:5], v[248:249], v[252:253]
	v_fmac_f64_e32 v[232:233], -0.5, v[4:5]
	v_add_f64 v[4:5], v[250:251], -v[254:255]
	v_fma_f64 v[242:243], s[4:5], v[4:5], v[232:233]
	v_fmac_f64_e32 v[232:233], s[2:3], v[4:5]
	v_add_f64 v[4:5], v[234:235], v[250:251]
	;; [unrolled: 7-line block ×3, first 2 shown]
	v_fmac_f64_e32 v[26:27], v[22:23], v[196:197]
	v_add_f64 v[248:249], v[4:5], v[24:25]
	v_add_f64 v[4:5], v[28:29], v[24:25]
	v_fmac_f64_e32 v[228:229], -0.5, v[4:5]
	v_add_f64 v[4:5], v[30:31], -v[26:27]
	v_fma_f64 v[22:23], s[4:5], v[4:5], v[228:229]
	v_fmac_f64_e32 v[228:229], s[2:3], v[4:5]
	v_add_f64 v[4:5], v[230:231], v[30:31]
	v_add_f64 v[250:251], v[4:5], v[26:27]
	v_add_f64 v[4:5], v[30:31], v[26:27]
	v_fmac_f64_e32 v[230:231], -0.5, v[4:5]
	v_add_f64 v[4:5], v[28:29], -v[24:25]
	v_fma_f64 v[24:25], s[2:3], v[4:5], v[230:231]
	v_fmac_f64_e32 v[230:231], s[4:5], v[4:5]
	v_add_f64 v[4:5], v[224:225], v[20:21]
	;; [unrolled: 7-line block ×5, first 2 shown]
	v_add_f64 v[18:19], v[12:13], v[6:7]
	v_add_f64 v[6:7], v[8:9], v[6:7]
	v_fmac_f64_e32 v[222:223], -0.5, v[6:7]
	v_add_f64 v[8:9], v[14:15], -v[10:11]
	v_fma_f64 v[6:7], s[2:3], v[8:9], v[222:223]
	v_fmac_f64_e32 v[222:223], s[4:5], v[8:9]
	ds_write_b128 v42, v[236:239]
	ds_write_b128 v42, v[32:35] offset:2160
	ds_write_b128 v42, v[0:3] offset:4320
	;; [unrolled: 1-line block ×14, first 2 shown]
	s_waitcnt lgkmcnt(0)
	s_barrier
	global_load_dwordx4 v[8:11], v[240:241], off offset:2384
	ds_read_b128 v[4:7], v42
	v_lshl_add_u64 v[2:3], v[246:247], 0, s[6:7]
	s_movk_i32 s6, 0x2000
	s_waitcnt vmcnt(0) lgkmcnt(0)
	v_mul_f64 v[0:1], v[6:7], v[10:11]
	v_mul_f64 v[14:15], v[4:5], v[10:11]
	v_fma_f64 v[12:13], v[4:5], v[8:9], -v[0:1]
	v_fmac_f64_e32 v[14:15], v[6:7], v[8:9]
	global_load_dwordx4 v[8:11], v[2:3], off offset:1296
	ds_read_b128 v[4:7], v42 offset:1296
	ds_write_b128 v42, v[12:15]
	s_waitcnt vmcnt(0) lgkmcnt(1)
	v_mul_f64 v[0:1], v[6:7], v[10:11]
	v_mul_f64 v[14:15], v[4:5], v[10:11]
	v_fma_f64 v[12:13], v[4:5], v[8:9], -v[0:1]
	v_fmac_f64_e32 v[14:15], v[6:7], v[8:9]
	global_load_dwordx4 v[8:11], v[2:3], off offset:2592
	ds_read_b128 v[4:7], v42 offset:2592
	ds_write_b128 v42, v[12:15] offset:1296
	s_waitcnt vmcnt(0) lgkmcnt(1)
	v_mul_f64 v[0:1], v[6:7], v[10:11]
	v_mul_f64 v[14:15], v[4:5], v[10:11]
	v_fma_f64 v[12:13], v[4:5], v[8:9], -v[0:1]
	v_fmac_f64_e32 v[14:15], v[6:7], v[8:9]
	global_load_dwordx4 v[8:11], v[2:3], off offset:3888
	ds_read_b128 v[4:7], v42 offset:3888
	ds_write_b128 v42, v[12:15] offset:2592
	s_waitcnt vmcnt(0) lgkmcnt(1)
	v_mul_f64 v[0:1], v[6:7], v[10:11]
	v_fma_f64 v[12:13], v[4:5], v[8:9], -v[0:1]
	v_add_co_u32_e32 v0, vcc, s6, v246
	v_mul_f64 v[14:15], v[4:5], v[10:11]
	s_nop 0
	v_addc_co_u32_e32 v1, vcc, 0, v247, vcc
	v_fmac_f64_e32 v[14:15], v[6:7], v[8:9]
	global_load_dwordx4 v[8:11], v[0:1], off offset:3472
	ds_read_b128 v[4:7], v42 offset:5184
	ds_write_b128 v42, v[12:15] offset:3888
	s_movk_i32 s6, 0x3000
	s_waitcnt vmcnt(0) lgkmcnt(1)
	v_mul_f64 v[12:13], v[6:7], v[10:11]
	v_mul_f64 v[14:15], v[4:5], v[10:11]
	v_fma_f64 v[12:13], v[4:5], v[8:9], -v[12:13]
	v_fmac_f64_e32 v[14:15], v[6:7], v[8:9]
	global_load_dwordx4 v[8:11], v[2:3], off offset:432
	ds_read_b128 v[4:7], v42 offset:432
	ds_write_b128 v42, v[12:15] offset:5184
	s_waitcnt vmcnt(0) lgkmcnt(1)
	v_mul_f64 v[12:13], v[6:7], v[10:11]
	v_mul_f64 v[14:15], v[4:5], v[10:11]
	v_fma_f64 v[12:13], v[4:5], v[8:9], -v[12:13]
	v_fmac_f64_e32 v[14:15], v[6:7], v[8:9]
	global_load_dwordx4 v[8:11], v[2:3], off offset:1728
	ds_read_b128 v[4:7], v42 offset:1728
	ds_write_b128 v42, v[12:15] offset:432
	;; [unrolled: 8-line block ×8, first 2 shown]
	s_waitcnt vmcnt(0) lgkmcnt(1)
	v_mul_f64 v[2:3], v[6:7], v[10:11]
	v_fma_f64 v[2:3], v[4:5], v[8:9], -v[2:3]
	v_mul_f64 v[4:5], v[4:5], v[10:11]
	v_fmac_f64_e32 v[4:5], v[6:7], v[8:9]
	global_load_dwordx4 v[6:9], v[0:1], off offset:3040
	ds_write_b128 v42, v[2:5] offset:3456
	ds_read_b128 v[2:5], v42 offset:4752
	s_waitcnt vmcnt(0) lgkmcnt(0)
	v_mul_f64 v[0:1], v[4:5], v[8:9]
	v_fma_f64 v[0:1], v[2:3], v[6:7], -v[0:1]
	v_mul_f64 v[2:3], v[2:3], v[8:9]
	v_fmac_f64_e32 v[2:3], v[4:5], v[6:7]
	v_add_co_u32_e32 v4, vcc, s6, v246
	ds_write_b128 v42, v[0:3] offset:4752
	s_nop 0
	v_addc_co_u32_e32 v5, vcc, 0, v247, vcc
	global_load_dwordx4 v[4:7], v[4:5], off offset:240
	ds_read_b128 v[0:3], v42 offset:6048
	s_waitcnt vmcnt(0) lgkmcnt(0)
	v_mul_f64 v[8:9], v[2:3], v[6:7]
	v_mul_f64 v[10:11], v[0:1], v[6:7]
	v_fma_f64 v[8:9], v[0:1], v[4:5], -v[8:9]
	v_fmac_f64_e32 v[10:11], v[2:3], v[4:5]
	ds_write_b128 v42, v[8:11] offset:6048
	s_waitcnt lgkmcnt(0)
	s_barrier
	ds_read_b128 v[228:231], v42
	ds_read_b128 v[8:11], v42 offset:1296
	ds_read_b128 v[32:35], v42 offset:2592
	;; [unrolled: 1-line block ×14, first 2 shown]
	s_waitcnt lgkmcnt(13)
	v_add_f64 v[28:29], v[228:229], v[8:9]
	s_waitcnt lgkmcnt(12)
	v_add_f64 v[28:29], v[28:29], v[32:33]
	;; [unrolled: 2-line block ×4, first 2 shown]
	v_add_f64 v[28:29], v[32:33], v[0:1]
	v_fma_f64 v[240:241], -0.5, v[28:29], v[228:229]
	v_add_f64 v[30:31], v[10:11], -v[6:7]
	v_fma_f64 v[28:29], s[16:17], v[30:31], v[240:241]
	v_add_f64 v[38:39], v[34:35], -v[2:3]
	v_add_f64 v[242:243], v[8:9], -v[32:33]
	;; [unrolled: 1-line block ×3, first 2 shown]
	v_fmac_f64_e32 v[240:241], s[8:9], v[30:31]
	v_fmac_f64_e32 v[28:29], s[12:13], v[38:39]
	v_add_f64 v[242:243], v[242:243], v[252:253]
	v_fmac_f64_e32 v[240:241], s[14:15], v[38:39]
	v_fmac_f64_e32 v[28:29], s[10:11], v[242:243]
	;; [unrolled: 1-line block ×3, first 2 shown]
	v_add_f64 v[242:243], v[8:9], v[4:5]
	v_fmac_f64_e32 v[228:229], -0.5, v[242:243]
	v_fma_f64 v[252:253], s[8:9], v[38:39], v[228:229]
	v_fmac_f64_e32 v[228:229], s[16:17], v[38:39]
	v_fmac_f64_e32 v[252:253], s[12:13], v[30:31]
	;; [unrolled: 1-line block ×3, first 2 shown]
	v_add_f64 v[30:31], v[230:231], v[10:11]
	v_add_f64 v[30:31], v[30:31], v[34:35]
	v_add_f64 v[242:243], v[32:33], -v[8:9]
	v_add_f64 v[254:255], v[0:1], -v[4:5]
	v_add_f64 v[30:31], v[30:31], v[2:3]
	v_add_f64 v[242:243], v[242:243], v[254:255]
	;; [unrolled: 1-line block ×4, first 2 shown]
	v_fmac_f64_e32 v[252:253], s[10:11], v[242:243]
	v_fmac_f64_e32 v[228:229], s[10:11], v[242:243]
	v_fma_f64 v[242:243], -0.5, v[30:31], v[230:231]
	v_add_f64 v[4:5], v[8:9], -v[4:5]
	v_fma_f64 v[30:31], s[8:9], v[4:5], v[242:243]
	v_add_f64 v[0:1], v[32:33], -v[0:1]
	v_add_f64 v[8:9], v[10:11], -v[34:35]
	v_add_f64 v[32:33], v[6:7], -v[2:3]
	v_fmac_f64_e32 v[242:243], s[16:17], v[4:5]
	v_fmac_f64_e32 v[30:31], s[14:15], v[0:1]
	v_add_f64 v[8:9], v[8:9], v[32:33]
	v_fmac_f64_e32 v[242:243], s[12:13], v[0:1]
	v_fmac_f64_e32 v[30:31], s[10:11], v[8:9]
	;; [unrolled: 1-line block ×3, first 2 shown]
	v_add_f64 v[8:9], v[10:11], v[6:7]
	v_fmac_f64_e32 v[230:231], -0.5, v[8:9]
	v_fma_f64 v[254:255], s[16:17], v[0:1], v[230:231]
	v_fmac_f64_e32 v[230:231], s[8:9], v[0:1]
	s_waitcnt lgkmcnt(8)
	v_add_f64 v[0:1], v[224:225], v[16:17]
	s_waitcnt lgkmcnt(7)
	v_add_f64 v[0:1], v[0:1], v[12:13]
	v_add_f64 v[8:9], v[34:35], -v[10:11]
	v_add_f64 v[2:3], v[2:3], -v[6:7]
	s_waitcnt lgkmcnt(6)
	v_add_f64 v[0:1], v[0:1], v[24:25]
	v_fmac_f64_e32 v[254:255], s[14:15], v[4:5]
	v_add_f64 v[2:3], v[8:9], v[2:3]
	v_fmac_f64_e32 v[230:231], s[12:13], v[4:5]
	s_waitcnt lgkmcnt(5)
	v_add_f64 v[32:33], v[0:1], v[20:21]
	v_add_f64 v[0:1], v[12:13], v[24:25]
	v_fmac_f64_e32 v[254:255], s[10:11], v[2:3]
	v_fmac_f64_e32 v[230:231], s[10:11], v[2:3]
	v_fma_f64 v[0:1], -0.5, v[0:1], v[224:225]
	v_add_f64 v[2:3], v[18:19], -v[22:23]
	v_fma_f64 v[4:5], s[16:17], v[2:3], v[0:1]
	v_add_f64 v[6:7], v[14:15], -v[26:27]
	v_add_f64 v[8:9], v[16:17], -v[12:13]
	;; [unrolled: 1-line block ×3, first 2 shown]
	v_fmac_f64_e32 v[0:1], s[8:9], v[2:3]
	v_fmac_f64_e32 v[4:5], s[12:13], v[6:7]
	v_add_f64 v[8:9], v[8:9], v[10:11]
	v_fmac_f64_e32 v[0:1], s[14:15], v[6:7]
	v_fmac_f64_e32 v[4:5], s[10:11], v[8:9]
	;; [unrolled: 1-line block ×3, first 2 shown]
	v_add_f64 v[8:9], v[16:17], v[20:21]
	v_fmac_f64_e32 v[224:225], -0.5, v[8:9]
	v_fma_f64 v[8:9], s[8:9], v[6:7], v[224:225]
	v_fmac_f64_e32 v[224:225], s[16:17], v[6:7]
	v_fmac_f64_e32 v[8:9], s[12:13], v[2:3]
	;; [unrolled: 1-line block ×3, first 2 shown]
	v_add_f64 v[2:3], v[226:227], v[18:19]
	v_add_f64 v[2:3], v[2:3], v[14:15]
	v_add_f64 v[10:11], v[12:13], -v[16:17]
	v_add_f64 v[34:35], v[24:25], -v[20:21]
	v_add_f64 v[2:3], v[2:3], v[26:27]
	v_add_f64 v[10:11], v[10:11], v[34:35]
	;; [unrolled: 1-line block ×4, first 2 shown]
	v_fma_f64 v[2:3], -0.5, v[2:3], v[226:227]
	v_add_f64 v[16:17], v[16:17], -v[20:21]
	v_fmac_f64_e32 v[8:9], s[10:11], v[10:11]
	v_fmac_f64_e32 v[224:225], s[10:11], v[10:11]
	v_fma_f64 v[6:7], s[8:9], v[16:17], v[2:3]
	v_add_f64 v[12:13], v[12:13], -v[24:25]
	v_add_f64 v[10:11], v[18:19], -v[14:15]
	;; [unrolled: 1-line block ×3, first 2 shown]
	v_fmac_f64_e32 v[2:3], s[16:17], v[16:17]
	v_fmac_f64_e32 v[6:7], s[14:15], v[12:13]
	v_add_f64 v[10:11], v[10:11], v[20:21]
	v_fmac_f64_e32 v[2:3], s[12:13], v[12:13]
	v_fmac_f64_e32 v[6:7], s[10:11], v[10:11]
	;; [unrolled: 1-line block ×3, first 2 shown]
	v_add_f64 v[10:11], v[18:19], v[22:23]
	v_fmac_f64_e32 v[226:227], -0.5, v[10:11]
	v_fma_f64 v[10:11], s[16:17], v[12:13], v[226:227]
	v_fmac_f64_e32 v[226:227], s[8:9], v[12:13]
	s_waitcnt lgkmcnt(3)
	v_add_f64 v[12:13], v[220:221], v[244:245]
	s_waitcnt lgkmcnt(2)
	v_add_f64 v[12:13], v[12:13], v[248:249]
	v_add_f64 v[14:15], v[14:15], -v[18:19]
	v_add_f64 v[18:19], v[26:27], -v[22:23]
	s_waitcnt lgkmcnt(1)
	v_add_f64 v[12:13], v[12:13], v[232:233]
	v_fmac_f64_e32 v[10:11], s[14:15], v[16:17]
	v_add_f64 v[14:15], v[14:15], v[18:19]
	v_fmac_f64_e32 v[226:227], s[12:13], v[16:17]
	s_waitcnt lgkmcnt(0)
	v_add_f64 v[24:25], v[12:13], v[236:237]
	v_add_f64 v[12:13], v[248:249], v[232:233]
	v_fmac_f64_e32 v[10:11], s[10:11], v[14:15]
	v_fmac_f64_e32 v[226:227], s[10:11], v[14:15]
	v_fma_f64 v[12:13], -0.5, v[12:13], v[220:221]
	v_add_f64 v[14:15], v[246:247], -v[238:239]
	v_fma_f64 v[20:21], s[16:17], v[14:15], v[12:13]
	v_add_f64 v[18:19], v[250:251], -v[234:235]
	v_add_f64 v[16:17], v[244:245], -v[248:249]
	;; [unrolled: 1-line block ×3, first 2 shown]
	v_fmac_f64_e32 v[12:13], s[8:9], v[14:15]
	v_fmac_f64_e32 v[20:21], s[12:13], v[18:19]
	v_add_f64 v[16:17], v[16:17], v[22:23]
	v_fmac_f64_e32 v[12:13], s[14:15], v[18:19]
	v_fmac_f64_e32 v[20:21], s[10:11], v[16:17]
	;; [unrolled: 1-line block ×3, first 2 shown]
	v_add_f64 v[16:17], v[244:245], v[236:237]
	v_fmac_f64_e32 v[220:221], -0.5, v[16:17]
	v_fma_f64 v[16:17], s[8:9], v[18:19], v[220:221]
	v_fmac_f64_e32 v[220:221], s[16:17], v[18:19]
	v_fmac_f64_e32 v[16:17], s[12:13], v[14:15]
	;; [unrolled: 1-line block ×3, first 2 shown]
	v_add_f64 v[14:15], v[222:223], v[246:247]
	v_add_f64 v[14:15], v[14:15], v[250:251]
	v_add_f64 v[22:23], v[248:249], -v[244:245]
	v_add_f64 v[26:27], v[232:233], -v[236:237]
	v_add_f64 v[14:15], v[14:15], v[234:235]
	v_add_f64 v[22:23], v[22:23], v[26:27]
	;; [unrolled: 1-line block ×4, first 2 shown]
	v_fma_f64 v[14:15], -0.5, v[14:15], v[222:223]
	v_add_f64 v[236:237], v[244:245], -v[236:237]
	v_fmac_f64_e32 v[16:17], s[10:11], v[22:23]
	v_fmac_f64_e32 v[220:221], s[10:11], v[22:23]
	v_fma_f64 v[22:23], s[8:9], v[236:237], v[14:15]
	v_add_f64 v[232:233], v[248:249], -v[232:233]
	v_add_f64 v[18:19], v[246:247], -v[250:251]
	;; [unrolled: 1-line block ×3, first 2 shown]
	v_fmac_f64_e32 v[14:15], s[16:17], v[236:237]
	v_fmac_f64_e32 v[22:23], s[14:15], v[232:233]
	v_add_f64 v[18:19], v[18:19], v[244:245]
	v_fmac_f64_e32 v[14:15], s[12:13], v[232:233]
	v_fmac_f64_e32 v[22:23], s[10:11], v[18:19]
	;; [unrolled: 1-line block ×3, first 2 shown]
	v_add_f64 v[18:19], v[246:247], v[238:239]
	v_fmac_f64_e32 v[222:223], -0.5, v[18:19]
	v_fma_f64 v[18:19], s[16:17], v[232:233], v[222:223]
	v_add_f64 v[244:245], v[250:251], -v[246:247]
	v_add_f64 v[234:235], v[234:235], -v[238:239]
	v_fmac_f64_e32 v[222:223], s[8:9], v[232:233]
	v_fmac_f64_e32 v[18:19], s[14:15], v[236:237]
	v_add_f64 v[234:235], v[244:245], v[234:235]
	v_fmac_f64_e32 v[222:223], s[12:13], v[236:237]
	s_barrier
	ds_write_b128 v44, v[36:39]
	ds_write_b128 v44, v[28:31] offset:16
	ds_write_b128 v44, v[252:255] offset:32
	;; [unrolled: 1-line block ×4, first 2 shown]
	v_accvgpr_read_b32 v28, a53
	v_fmac_f64_e32 v[18:19], s[10:11], v[234:235]
	v_fmac_f64_e32 v[222:223], s[10:11], v[234:235]
	ds_write_b128 v28, v[32:35]
	ds_write_b128 v28, v[4:7] offset:16
	ds_write_b128 v28, v[8:11] offset:32
	ds_write_b128 v28, v[224:227] offset:48
	ds_write_b128 v28, v[0:3] offset:64
	v_accvgpr_read_b32 v0, a52
	ds_write_b128 v0, v[24:27]
	ds_write_b128 v0, v[20:23] offset:16
	ds_write_b128 v0, v[16:19] offset:32
	;; [unrolled: 1-line block ×4, first 2 shown]
	s_waitcnt lgkmcnt(0)
	s_barrier
	ds_read_b128 v[8:11], v42
	ds_read_b128 v[12:15], v42 offset:2160
	ds_read_b128 v[16:19], v42 offset:4320
	;; [unrolled: 1-line block ×14, first 2 shown]
	s_waitcnt lgkmcnt(13)
	v_mul_f64 v[240:241], v[66:67], v[14:15]
	v_fmac_f64_e32 v[240:241], v[64:65], v[12:13]
	v_mul_f64 v[12:13], v[66:67], v[12:13]
	v_fma_f64 v[12:13], v[64:65], v[14:15], -v[12:13]
	s_waitcnt lgkmcnt(12)
	v_mul_f64 v[14:15], v[62:63], v[18:19]
	v_fmac_f64_e32 v[14:15], v[60:61], v[16:17]
	v_mul_f64 v[16:17], v[62:63], v[16:17]
	v_fma_f64 v[16:17], v[60:61], v[18:19], -v[16:17]
	;; [unrolled: 5-line block ×5, first 2 shown]
	s_waitcnt lgkmcnt(6)
	v_mul_f64 v[28:29], v[78:79], v[32:33]
	v_fma_f64 v[74:75], v[76:77], v[34:35], -v[28:29]
	s_waitcnt lgkmcnt(4)
	v_mul_f64 v[28:29], v[98:99], v[36:37]
	v_mul_f64 v[72:73], v[78:79], v[34:35]
	v_fma_f64 v[78:79], v[96:97], v[38:39], -v[28:29]
	s_waitcnt lgkmcnt(3)
	v_mul_f64 v[28:29], v[94:95], v[228:229]
	v_fma_f64 v[82:83], v[92:93], v[230:231], -v[28:29]
	s_waitcnt lgkmcnt(1)
	v_mul_f64 v[28:29], v[122:123], v[232:233]
	v_mul_f64 v[80:81], v[94:95], v[230:231]
	v_fma_f64 v[94:95], v[120:121], v[234:235], -v[28:29]
	s_waitcnt lgkmcnt(0)
	v_mul_f64 v[28:29], v[114:115], v[236:237]
	v_fmac_f64_e32 v[72:73], v[76:77], v[32:33]
	v_mul_f64 v[76:77], v[98:99], v[38:39]
	v_fma_f64 v[98:99], v[112:113], v[238:239], -v[28:29]
	v_add_f64 v[28:29], v[8:9], v[240:241]
	v_add_f64 v[68:69], v[28:29], v[14:15]
	;; [unrolled: 1-line block ×3, first 2 shown]
	v_fmac_f64_e32 v[8:9], -0.5, v[28:29]
	v_add_f64 v[28:29], v[12:13], -v[16:17]
	v_fma_f64 v[64:65], s[2:3], v[28:29], v[8:9]
	v_fmac_f64_e32 v[8:9], s[4:5], v[28:29]
	v_add_f64 v[28:29], v[10:11], v[12:13]
	v_add_f64 v[12:13], v[12:13], v[16:17]
	v_fmac_f64_e32 v[10:11], -0.5, v[12:13]
	v_add_f64 v[12:13], v[240:241], -v[14:15]
	v_fma_f64 v[66:67], s[4:5], v[12:13], v[10:11]
	v_fmac_f64_e32 v[10:11], s[2:3], v[12:13]
	v_add_f64 v[12:13], v[224:225], v[18:19]
	v_add_f64 v[60:61], v[12:13], v[22:23]
	;; [unrolled: 1-line block ×3, first 2 shown]
	v_fmac_f64_e32 v[224:225], -0.5, v[12:13]
	v_add_f64 v[12:13], v[20:21], -v[24:25]
	v_fmac_f64_e32 v[76:77], v[96:97], v[36:37]
	v_fma_f64 v[36:37], s[2:3], v[12:13], v[224:225]
	v_fmac_f64_e32 v[224:225], s[4:5], v[12:13]
	v_add_f64 v[12:13], v[226:227], v[20:21]
	v_add_f64 v[62:63], v[12:13], v[24:25]
	;; [unrolled: 1-line block ×3, first 2 shown]
	v_fmac_f64_e32 v[226:227], -0.5, v[12:13]
	v_add_f64 v[12:13], v[18:19], -v[22:23]
	v_fma_f64 v[38:39], s[4:5], v[12:13], v[226:227]
	v_fmac_f64_e32 v[226:227], s[2:3], v[12:13]
	v_add_f64 v[12:13], v[4:5], v[26:27]
	v_add_f64 v[32:33], v[12:13], v[72:73]
	;; [unrolled: 1-line block ×3, first 2 shown]
	v_fmac_f64_e32 v[4:5], -0.5, v[12:13]
	v_add_f64 v[12:13], v[30:31], -v[74:75]
	v_add_f64 v[70:71], v[28:29], v[16:17]
	v_fma_f64 v[28:29], s[2:3], v[12:13], v[4:5]
	v_fmac_f64_e32 v[4:5], s[4:5], v[12:13]
	v_add_f64 v[12:13], v[6:7], v[30:31]
	v_add_f64 v[34:35], v[12:13], v[74:75]
	;; [unrolled: 1-line block ×3, first 2 shown]
	v_fmac_f64_e32 v[6:7], -0.5, v[12:13]
	v_add_f64 v[12:13], v[26:27], -v[72:73]
	v_fmac_f64_e32 v[80:81], v[92:93], v[228:229]
	v_fma_f64 v[30:31], s[4:5], v[12:13], v[6:7]
	v_fmac_f64_e32 v[6:7], s[2:3], v[12:13]
	v_add_f64 v[12:13], v[220:221], v[76:77]
	v_add_f64 v[24:25], v[12:13], v[80:81]
	;; [unrolled: 1-line block ×3, first 2 shown]
	v_fmac_f64_e32 v[220:221], -0.5, v[12:13]
	v_add_f64 v[12:13], v[78:79], -v[82:83]
	v_fma_f64 v[20:21], s[2:3], v[12:13], v[220:221]
	v_fmac_f64_e32 v[220:221], s[4:5], v[12:13]
	v_add_f64 v[12:13], v[222:223], v[78:79]
	v_mul_f64 v[92:93], v[122:123], v[234:235]
	v_add_f64 v[26:27], v[12:13], v[82:83]
	v_add_f64 v[12:13], v[78:79], v[82:83]
	v_fmac_f64_e32 v[92:93], v[120:121], v[232:233]
	v_mul_f64 v[96:97], v[114:115], v[238:239]
	v_fmac_f64_e32 v[222:223], -0.5, v[12:13]
	v_add_f64 v[12:13], v[76:77], -v[80:81]
	v_fmac_f64_e32 v[96:97], v[112:113], v[236:237]
	v_fma_f64 v[22:23], s[4:5], v[12:13], v[222:223]
	v_fmac_f64_e32 v[222:223], s[2:3], v[12:13]
	v_add_f64 v[12:13], v[0:1], v[92:93]
	v_add_f64 v[16:17], v[12:13], v[96:97]
	;; [unrolled: 1-line block ×3, first 2 shown]
	v_fmac_f64_e32 v[0:1], -0.5, v[12:13]
	v_add_f64 v[14:15], v[94:95], -v[98:99]
	v_accvgpr_read_b32 v44, a58
	v_fma_f64 v[12:13], s[2:3], v[14:15], v[0:1]
	v_fmac_f64_e32 v[0:1], s[4:5], v[14:15]
	v_add_f64 v[14:15], v[2:3], v[94:95]
	s_barrier
	ds_write_b128 v44, v[68:71]
	ds_write_b128 v44, v[64:67] offset:80
	ds_write_b128 v44, v[8:11] offset:160
	v_accvgpr_read_b32 v8, a54
	v_add_f64 v[18:19], v[14:15], v[98:99]
	v_add_f64 v[14:15], v[94:95], v[98:99]
	ds_write_b128 v8, v[60:63]
	ds_write_b128 v8, v[36:39] offset:80
	ds_write_b128 v8, v[224:227] offset:160
	v_accvgpr_read_b32 v8, a56
	v_fmac_f64_e32 v[2:3], -0.5, v[14:15]
	v_add_f64 v[72:73], v[92:93], -v[96:97]
	ds_write_b128 v8, v[32:35]
	ds_write_b128 v8, v[28:31] offset:80
	ds_write_b128 v8, v[4:7] offset:160
	v_accvgpr_read_b32 v4, a57
	v_fma_f64 v[14:15], s[4:5], v[72:73], v[2:3]
	v_fmac_f64_e32 v[2:3], s[2:3], v[72:73]
	ds_write_b128 v4, v[24:27]
	ds_write_b128 v4, v[20:23] offset:80
	ds_write_b128 v4, v[220:223] offset:160
	v_accvgpr_read_b32 v4, a55
	ds_write_b128 v4, v[16:19]
	ds_write_b128 v4, v[12:15] offset:80
	ds_write_b128 v4, v[0:3] offset:160
	s_waitcnt lgkmcnt(0)
	s_barrier
	ds_read_b128 v[16:19], v42
	ds_read_b128 v[20:23], v42 offset:2160
	ds_read_b128 v[24:27], v42 offset:4320
	;; [unrolled: 1-line block ×14, first 2 shown]
	s_waitcnt lgkmcnt(13)
	v_mul_f64 v[80:81], v[90:91], v[22:23]
	v_fmac_f64_e32 v[80:81], v[88:89], v[20:21]
	v_mul_f64 v[20:21], v[90:91], v[20:21]
	v_fma_f64 v[20:21], v[88:89], v[22:23], -v[20:21]
	s_waitcnt lgkmcnt(12)
	v_mul_f64 v[22:23], v[86:87], v[26:27]
	v_fmac_f64_e32 v[22:23], v[84:85], v[24:25]
	v_mul_f64 v[24:25], v[86:87], v[24:25]
	v_fma_f64 v[24:25], v[84:85], v[26:27], -v[24:25]
	;; [unrolled: 5-line block ×5, first 2 shown]
	s_waitcnt lgkmcnt(6)
	v_mul_f64 v[36:37], v[110:111], v[60:61]
	v_fma_f64 v[86:87], v[108:109], v[62:63], -v[36:37]
	s_waitcnt lgkmcnt(4)
	v_mul_f64 v[36:37], v[130:131], v[64:65]
	v_fma_f64 v[90:91], v[128:129], v[66:67], -v[36:37]
	;; [unrolled: 3-line block ×4, first 2 shown]
	s_waitcnt lgkmcnt(0)
	v_mul_f64 v[36:37], v[134:135], v[76:77]
	v_add_f64 v[38:39], v[80:81], v[22:23]
	v_mul_f64 v[84:85], v[110:111], v[62:63]
	v_fma_f64 v[102:103], v[132:133], v[78:79], -v[36:37]
	v_add_f64 v[36:37], v[16:17], v[80:81]
	v_fmac_f64_e32 v[16:17], -0.5, v[38:39]
	v_add_f64 v[38:39], v[20:21], -v[24:25]
	v_fmac_f64_e32 v[84:85], v[108:109], v[60:61]
	v_fma_f64 v[60:61], s[2:3], v[38:39], v[16:17]
	v_fmac_f64_e32 v[16:17], s[4:5], v[38:39]
	v_add_f64 v[38:39], v[18:19], v[20:21]
	v_add_f64 v[20:21], v[20:21], v[24:25]
	v_fmac_f64_e32 v[18:19], -0.5, v[20:21]
	v_add_f64 v[20:21], v[80:81], -v[22:23]
	v_mul_f64 v[88:89], v[130:131], v[66:67]
	v_fma_f64 v[62:63], s[4:5], v[20:21], v[18:19]
	v_fmac_f64_e32 v[18:19], s[2:3], v[20:21]
	v_add_f64 v[20:21], v[12:13], v[26:27]
	v_fmac_f64_e32 v[88:89], v[128:129], v[64:65]
	v_add_f64 v[64:65], v[20:21], v[30:31]
	v_add_f64 v[20:21], v[26:27], v[30:31]
	v_mul_f64 v[92:93], v[126:127], v[70:71]
	v_fmac_f64_e32 v[12:13], -0.5, v[20:21]
	v_add_f64 v[20:21], v[28:29], -v[32:33]
	v_fmac_f64_e32 v[92:93], v[124:125], v[68:69]
	v_fma_f64 v[68:69], s[2:3], v[20:21], v[12:13]
	v_fmac_f64_e32 v[12:13], s[4:5], v[20:21]
	v_add_f64 v[20:21], v[14:15], v[28:29]
	v_add_f64 v[66:67], v[20:21], v[32:33]
	;; [unrolled: 1-line block ×3, first 2 shown]
	v_fmac_f64_e32 v[14:15], -0.5, v[20:21]
	v_add_f64 v[20:21], v[26:27], -v[30:31]
	v_mul_f64 v[96:97], v[138:139], v[74:75]
	v_fma_f64 v[70:71], s[4:5], v[20:21], v[14:15]
	v_fmac_f64_e32 v[14:15], s[2:3], v[20:21]
	v_add_f64 v[20:21], v[8:9], v[34:35]
	v_fmac_f64_e32 v[96:97], v[136:137], v[72:73]
	v_add_f64 v[72:73], v[20:21], v[84:85]
	v_add_f64 v[20:21], v[34:35], v[84:85]
	v_mul_f64 v[100:101], v[134:135], v[78:79]
	v_fmac_f64_e32 v[8:9], -0.5, v[20:21]
	v_add_f64 v[20:21], v[82:83], -v[86:87]
	v_fmac_f64_e32 v[100:101], v[132:133], v[76:77]
	v_fma_f64 v[76:77], s[2:3], v[20:21], v[8:9]
	v_fmac_f64_e32 v[8:9], s[4:5], v[20:21]
	v_add_f64 v[20:21], v[10:11], v[82:83]
	v_add_f64 v[74:75], v[20:21], v[86:87]
	v_add_f64 v[20:21], v[82:83], v[86:87]
	v_fmac_f64_e32 v[10:11], -0.5, v[20:21]
	v_add_f64 v[20:21], v[34:35], -v[84:85]
	v_fma_f64 v[78:79], s[4:5], v[20:21], v[10:11]
	v_fmac_f64_e32 v[10:11], s[2:3], v[20:21]
	v_add_f64 v[20:21], v[4:5], v[88:89]
	v_add_f64 v[32:33], v[20:21], v[92:93]
	v_add_f64 v[20:21], v[88:89], v[92:93]
	v_fmac_f64_e32 v[4:5], -0.5, v[20:21]
	v_add_f64 v[20:21], v[90:91], -v[94:95]
	;; [unrolled: 7-line block ×3, first 2 shown]
	v_fma_f64 v[30:31], s[4:5], v[20:21], v[6:7]
	v_fmac_f64_e32 v[6:7], s[2:3], v[20:21]
	v_add_f64 v[20:21], v[0:1], v[96:97]
	v_add_f64 v[38:39], v[38:39], v[24:25]
	;; [unrolled: 1-line block ×5, first 2 shown]
	v_fmac_f64_e32 v[0:1], -0.5, v[20:21]
	v_add_f64 v[22:23], v[98:99], -v[102:103]
	v_fma_f64 v[20:21], s[2:3], v[22:23], v[0:1]
	v_fmac_f64_e32 v[0:1], s[4:5], v[22:23]
	v_add_f64 v[22:23], v[2:3], v[98:99]
	v_accvgpr_read_b32 v44, a59
	v_add_f64 v[26:27], v[22:23], v[102:103]
	v_add_f64 v[22:23], v[98:99], v[102:103]
	s_barrier
	ds_write_b128 v44, v[36:39]
	ds_write_b128 v44, v[60:63] offset:240
	ds_write_b128 v44, v[16:19] offset:480
	v_accvgpr_read_b32 v16, a60
	v_fmac_f64_e32 v[2:3], -0.5, v[22:23]
	v_add_f64 v[80:81], v[96:97], -v[100:101]
	ds_write_b128 v16, v[64:67]
	ds_write_b128 v16, v[68:71] offset:240
	ds_write_b128 v16, v[12:15] offset:480
	v_accvgpr_read_b32 v12, a61
	v_fma_f64 v[22:23], s[4:5], v[80:81], v[2:3]
	v_fmac_f64_e32 v[2:3], s[2:3], v[80:81]
	ds_write_b128 v12, v[72:75]
	ds_write_b128 v12, v[76:79] offset:240
	ds_write_b128 v12, v[8:11] offset:480
	v_accvgpr_read_b32 v8, a62
	ds_write_b128 v8, v[32:35]
	ds_write_b128 v8, v[28:31] offset:240
	ds_write_b128 v8, v[4:7] offset:480
	ds_write_b128 v47, v[24:27]
	ds_write_b128 v47, v[20:23] offset:240
	ds_write_b128 v47, v[0:3] offset:480
	s_waitcnt lgkmcnt(0)
	s_barrier
	ds_read_b128 v[12:15], v42
	ds_read_b128 v[20:23], v42 offset:2160
	ds_read_b128 v[24:27], v42 offset:4320
	;; [unrolled: 1-line block ×14, first 2 shown]
	s_waitcnt lgkmcnt(13)
	v_mul_f64 v[80:81], v[146:147], v[22:23]
	v_fmac_f64_e32 v[80:81], v[144:145], v[20:21]
	v_mul_f64 v[20:21], v[146:147], v[20:21]
	v_fma_f64 v[20:21], v[144:145], v[22:23], -v[20:21]
	s_waitcnt lgkmcnt(12)
	v_mul_f64 v[22:23], v[142:143], v[26:27]
	v_fmac_f64_e32 v[22:23], v[140:141], v[24:25]
	v_mul_f64 v[24:25], v[142:143], v[24:25]
	v_fma_f64 v[24:25], v[140:141], v[26:27], -v[24:25]
	;; [unrolled: 5-line block ×5, first 2 shown]
	s_waitcnt lgkmcnt(6)
	v_mul_f64 v[36:37], v[158:159], v[60:61]
	v_fma_f64 v[84:85], v[156:157], v[62:63], -v[36:37]
	s_waitcnt lgkmcnt(4)
	v_mul_f64 v[36:37], v[170:171], v[64:65]
	v_fma_f64 v[88:89], v[168:169], v[66:67], -v[36:37]
	;; [unrolled: 3-line block ×4, first 2 shown]
	s_waitcnt lgkmcnt(0)
	v_mul_f64 v[36:37], v[174:175], v[76:77]
	v_mul_f64 v[94:95], v[178:179], v[74:75]
	v_fma_f64 v[100:101], v[172:173], v[78:79], -v[36:37]
	v_add_f64 v[36:37], v[12:13], v[80:81]
	v_fmac_f64_e32 v[94:95], v[176:177], v[72:73]
	v_add_f64 v[72:73], v[36:37], v[22:23]
	v_add_f64 v[36:37], v[80:81], v[22:23]
	v_mul_f64 v[98:99], v[174:175], v[78:79]
	v_fmac_f64_e32 v[12:13], -0.5, v[36:37]
	v_add_f64 v[36:37], v[20:21], -v[24:25]
	v_fmac_f64_e32 v[98:99], v[172:173], v[76:77]
	v_fma_f64 v[76:77], s[2:3], v[36:37], v[12:13]
	v_fmac_f64_e32 v[12:13], s[4:5], v[36:37]
	v_add_f64 v[36:37], v[14:15], v[20:21]
	v_add_f64 v[20:21], v[20:21], v[24:25]
	v_fmac_f64_e32 v[14:15], -0.5, v[20:21]
	v_add_f64 v[20:21], v[80:81], -v[22:23]
	v_mul_f64 v[90:91], v[166:167], v[70:71]
	v_fma_f64 v[78:79], s[4:5], v[20:21], v[14:15]
	v_fmac_f64_e32 v[14:15], s[2:3], v[20:21]
	v_add_f64 v[20:21], v[8:9], v[26:27]
	v_fmac_f64_e32 v[90:91], v[164:165], v[68:69]
	v_add_f64 v[68:69], v[20:21], v[30:31]
	v_add_f64 v[20:21], v[26:27], v[30:31]
	v_mul_f64 v[86:87], v[170:171], v[66:67]
	v_fmac_f64_e32 v[8:9], -0.5, v[20:21]
	v_add_f64 v[20:21], v[28:29], -v[32:33]
	v_fmac_f64_e32 v[86:87], v[168:169], v[64:65]
	v_fma_f64 v[64:65], s[2:3], v[20:21], v[8:9]
	v_fmac_f64_e32 v[8:9], s[4:5], v[20:21]
	v_add_f64 v[20:21], v[10:11], v[28:29]
	v_add_f64 v[70:71], v[20:21], v[32:33]
	;; [unrolled: 1-line block ×3, first 2 shown]
	v_mul_f64 v[82:83], v[158:159], v[62:63]
	v_fmac_f64_e32 v[10:11], -0.5, v[20:21]
	v_add_f64 v[20:21], v[26:27], -v[30:31]
	v_fmac_f64_e32 v[82:83], v[156:157], v[60:61]
	v_fma_f64 v[66:67], s[4:5], v[20:21], v[10:11]
	v_fmac_f64_e32 v[10:11], s[2:3], v[20:21]
	v_add_f64 v[20:21], v[4:5], v[34:35]
	v_add_f64 v[60:61], v[20:21], v[82:83]
	;; [unrolled: 1-line block ×3, first 2 shown]
	v_fmac_f64_e32 v[4:5], -0.5, v[20:21]
	v_add_f64 v[20:21], v[38:39], -v[84:85]
	v_add_f64 v[74:75], v[36:37], v[24:25]
	v_fma_f64 v[36:37], s[2:3], v[20:21], v[4:5]
	v_fmac_f64_e32 v[4:5], s[4:5], v[20:21]
	v_add_f64 v[20:21], v[6:7], v[38:39]
	v_add_f64 v[62:63], v[20:21], v[84:85]
	v_add_f64 v[20:21], v[38:39], v[84:85]
	v_fmac_f64_e32 v[6:7], -0.5, v[20:21]
	v_add_f64 v[20:21], v[34:35], -v[82:83]
	v_fma_f64 v[38:39], s[4:5], v[20:21], v[6:7]
	v_fmac_f64_e32 v[6:7], s[2:3], v[20:21]
	v_add_f64 v[20:21], v[0:1], v[86:87]
	v_add_f64 v[32:33], v[20:21], v[90:91]
	v_add_f64 v[20:21], v[86:87], v[90:91]
	v_fmac_f64_e32 v[0:1], -0.5, v[20:21]
	v_add_f64 v[20:21], v[88:89], -v[92:93]
	;; [unrolled: 7-line block ×5, first 2 shown]
	v_fma_f64 v[22:23], s[4:5], v[80:81], v[18:19]
	v_fmac_f64_e32 v[18:19], s[2:3], v[80:81]
	s_barrier
	ds_write_b128 v42, v[72:75]
	ds_write_b128 v42, v[76:79] offset:720
	ds_write_b128 v42, v[12:15] offset:1440
	ds_write_b128 v46, v[68:71]
	ds_write_b128 v46, v[64:67] offset:720
	ds_write_b128 v46, v[8:11] offset:1440
	ds_write_b128 v42, v[60:63] offset:2304
	ds_write_b128 v42, v[36:39] offset:3024
	ds_write_b128 v42, v[4:7] offset:3744
	ds_write_b128 v45, v[32:35]
	ds_write_b128 v45, v[28:31] offset:720
	ds_write_b128 v45, v[0:3] offset:1440
	;; [unrolled: 1-line block ×5, first 2 shown]
	s_waitcnt lgkmcnt(0)
	s_barrier
	ds_read_b128 v[0:3], v42
	ds_read_b128 v[20:23], v42 offset:2160
	ds_read_b128 v[24:27], v42 offset:4320
	;; [unrolled: 1-line block ×14, first 2 shown]
	s_waitcnt lgkmcnt(13)
	v_mul_f64 v[76:77], v[186:187], v[22:23]
	v_fmac_f64_e32 v[76:77], v[184:185], v[20:21]
	v_mul_f64 v[20:21], v[186:187], v[20:21]
	v_fma_f64 v[78:79], v[184:185], v[22:23], -v[20:21]
	s_waitcnt lgkmcnt(12)
	v_mul_f64 v[20:21], v[182:183], v[24:25]
	v_mul_f64 v[80:81], v[182:183], v[26:27]
	v_fma_f64 v[26:27], v[180:181], v[26:27], -v[20:21]
	s_waitcnt lgkmcnt(10)
	v_mul_f64 v[20:21], v[194:195], v[28:29]
	v_fma_f64 v[84:85], v[192:193], v[30:31], -v[20:21]
	s_waitcnt lgkmcnt(9)
	v_mul_f64 v[20:21], v[190:191], v[32:33]
	v_mul_f64 v[86:87], v[190:191], v[34:35]
	v_fma_f64 v[34:35], v[188:189], v[34:35], -v[20:21]
	s_waitcnt lgkmcnt(7)
	;; [unrolled: 7-line block ×3, first 2 shown]
	v_mul_f64 v[20:21], v[210:211], v[60:61]
	v_fma_f64 v[96:97], v[208:209], v[62:63], -v[20:21]
	s_waitcnt lgkmcnt(3)
	v_mul_f64 v[20:21], v[206:207], v[64:65]
	v_fmac_f64_e32 v[80:81], v[180:181], v[24:25]
	v_mul_f64 v[98:99], v[206:207], v[66:67]
	v_fma_f64 v[66:67], v[204:205], v[66:67], -v[20:21]
	s_waitcnt lgkmcnt(1)
	v_mul_f64 v[20:21], v[218:219], v[68:69]
	v_fma_f64 v[102:103], v[216:217], v[70:71], -v[20:21]
	s_waitcnt lgkmcnt(0)
	v_mul_f64 v[20:21], v[214:215], v[72:73]
	v_add_f64 v[22:23], v[76:77], v[80:81]
	v_mul_f64 v[104:105], v[214:215], v[74:75]
	v_fma_f64 v[74:75], v[212:213], v[74:75], -v[20:21]
	v_add_f64 v[20:21], v[0:1], v[76:77]
	v_fmac_f64_e32 v[0:1], -0.5, v[22:23]
	v_add_f64 v[22:23], v[78:79], -v[26:27]
	v_mul_f64 v[82:83], v[194:195], v[30:31]
	v_fma_f64 v[24:25], s[2:3], v[22:23], v[0:1]
	v_fmac_f64_e32 v[0:1], s[4:5], v[22:23]
	v_add_f64 v[22:23], v[2:3], v[78:79]
	v_fmac_f64_e32 v[82:83], v[192:193], v[28:29]
	v_fmac_f64_e32 v[86:87], v[188:189], v[32:33]
	v_add_f64 v[22:23], v[22:23], v[26:27]
	v_add_f64 v[26:27], v[78:79], v[26:27]
	v_fmac_f64_e32 v[2:3], -0.5, v[26:27]
	v_add_f64 v[28:29], v[76:77], -v[80:81]
	v_add_f64 v[30:31], v[82:83], v[86:87]
	v_fma_f64 v[26:27], s[4:5], v[28:29], v[2:3]
	v_fmac_f64_e32 v[2:3], s[2:3], v[28:29]
	v_add_f64 v[28:29], v[4:5], v[82:83]
	v_fmac_f64_e32 v[4:5], -0.5, v[30:31]
	v_add_f64 v[30:31], v[84:85], -v[34:35]
	v_mul_f64 v[88:89], v[202:203], v[38:39]
	v_fma_f64 v[32:33], s[2:3], v[30:31], v[4:5]
	v_fmac_f64_e32 v[4:5], s[4:5], v[30:31]
	v_add_f64 v[30:31], v[6:7], v[84:85]
	v_fmac_f64_e32 v[88:89], v[200:201], v[36:37]
	v_fmac_f64_e32 v[92:93], v[196:197], v[44:45]
	v_add_f64 v[30:31], v[30:31], v[34:35]
	v_add_f64 v[34:35], v[84:85], v[34:35]
	v_fmac_f64_e32 v[6:7], -0.5, v[34:35]
	v_add_f64 v[36:37], v[82:83], -v[86:87]
	v_add_f64 v[38:39], v[88:89], v[92:93]
	v_fma_f64 v[34:35], s[4:5], v[36:37], v[6:7]
	v_fmac_f64_e32 v[6:7], s[2:3], v[36:37]
	;; [unrolled: 16-line block ×4, first 2 shown]
	v_add_f64 v[68:69], v[16:17], v[100:101]
	v_fmac_f64_e32 v[16:17], -0.5, v[70:71]
	v_add_f64 v[70:71], v[102:103], -v[74:75]
	v_fma_f64 v[72:73], s[2:3], v[70:71], v[16:17]
	v_fmac_f64_e32 v[16:17], s[4:5], v[70:71]
	v_add_f64 v[70:71], v[18:19], v[102:103]
	v_add_f64 v[70:71], v[70:71], v[74:75]
	;; [unrolled: 1-line block ×4, first 2 shown]
	v_fmac_f64_e32 v[18:19], -0.5, v[74:75]
	v_add_f64 v[76:77], v[100:101], -v[104:105]
	v_add_f64 v[28:29], v[28:29], v[86:87]
	v_add_f64 v[36:37], v[36:37], v[92:93]
	;; [unrolled: 1-line block ×4, first 2 shown]
	v_fma_f64 v[74:75], s[4:5], v[76:77], v[18:19]
	v_fmac_f64_e32 v[18:19], s[2:3], v[76:77]
	ds_write_b128 v42, v[20:23]
	ds_write_b128 v42, v[24:27] offset:2160
	ds_write_b128 v42, v[0:3] offset:4320
	;; [unrolled: 1-line block ×14, first 2 shown]
	s_waitcnt lgkmcnt(0)
	s_barrier
	ds_read_b128 v[0:3], v42
	v_accvgpr_read_b32 v6, a28
	v_accvgpr_read_b32 v8, a30
	;; [unrolled: 1-line block ×4, first 2 shown]
	s_waitcnt lgkmcnt(0)
	v_mul_f64 v[4:5], v[8:9], v[2:3]
	v_fmac_f64_e32 v[4:5], v[6:7], v[0:1]
	s_mov_b32 s2, 0x30abee4d
	v_mul_f64 v[0:1], v[8:9], v[0:1]
	s_mov_b32 s3, 0x3f643a27
	v_fma_f64 v[0:1], v[6:7], v[2:3], -v[0:1]
	v_mul_f64 v[6:7], v[0:1], s[2:3]
	v_mad_u64_u32 v[0:1], s[4:5], s0, v40, 0
	v_mov_b32_e32 v2, v1
	v_mad_u64_u32 v[2:3], s[4:5], s1, v40, v[2:3]
	v_mov_b32_e32 v1, v2
	v_accvgpr_read_b32 v2, a8
	v_accvgpr_read_b32 v8, a14
	;; [unrolled: 1-line block ×4, first 2 shown]
	v_lshl_add_u64 v[2:3], v[8:9], 4, v[2:3]
	v_lshl_add_u64 v[8:9], v[0:1], 4, v[2:3]
	ds_read_b128 v[0:3], v42 offset:1296
	v_accvgpr_read_b32 v10, a40
	v_mul_f64 v[4:5], v[4:5], s[2:3]
	v_accvgpr_read_b32 v12, a42
	v_accvgpr_read_b32 v13, a43
	global_store_dwordx4 v[8:9], v[4:7], off
	v_accvgpr_read_b32 v11, a41
	v_mad_u64_u32 v[8:9], s[4:5], s0, v43, v[8:9]
	s_waitcnt lgkmcnt(0)
	v_mul_f64 v[4:5], v[12:13], v[2:3]
	v_fmac_f64_e32 v[4:5], v[10:11], v[0:1]
	v_mul_f64 v[0:1], v[12:13], v[0:1]
	v_fma_f64 v[0:1], v[10:11], v[2:3], -v[0:1]
	v_mul_f64 v[6:7], v[0:1], s[2:3]
	ds_read_b128 v[0:3], v42 offset:2592
	s_mul_i32 s4, s1, 0x510
	v_accvgpr_read_b32 v10, a48
	v_mul_f64 v[4:5], v[4:5], s[2:3]
	v_add_u32_e32 v9, s4, v9
	v_accvgpr_read_b32 v12, a50
	v_accvgpr_read_b32 v13, a51
	global_store_dwordx4 v[8:9], v[4:7], off
	v_accvgpr_read_b32 v11, a49
	v_mad_u64_u32 v[8:9], s[6:7], s0, v43, v[8:9]
	s_waitcnt lgkmcnt(0)
	v_mul_f64 v[4:5], v[12:13], v[2:3]
	v_fmac_f64_e32 v[4:5], v[10:11], v[0:1]
	v_mul_f64 v[0:1], v[12:13], v[0:1]
	v_fma_f64 v[0:1], v[10:11], v[2:3], -v[0:1]
	v_mul_f64 v[6:7], v[0:1], s[2:3]
	ds_read_b128 v[0:3], v42 offset:3888
	v_mul_f64 v[4:5], v[4:5], s[2:3]
	v_add_u32_e32 v9, s4, v9
	global_store_dwordx4 v[8:9], v[4:7], off
	v_mad_u64_u32 v[8:9], s[6:7], s0, v43, v[8:9]
	s_waitcnt lgkmcnt(0)
	v_mul_f64 v[4:5], v[54:55], v[2:3]
	v_fmac_f64_e32 v[4:5], v[52:53], v[0:1]
	v_mul_f64 v[0:1], v[54:55], v[0:1]
	v_fma_f64 v[0:1], v[52:53], v[2:3], -v[0:1]
	v_mul_f64 v[6:7], v[0:1], s[2:3]
	ds_read_b128 v[0:3], v42 offset:5184
	v_mul_f64 v[4:5], v[4:5], s[2:3]
	v_add_u32_e32 v9, s4, v9
	global_store_dwordx4 v[8:9], v[4:7], off
	v_mad_u64_u32 v[8:9], s[6:7], s0, v43, v[8:9]
	s_waitcnt lgkmcnt(0)
	v_mul_f64 v[4:5], v[58:59], v[2:3]
	v_fmac_f64_e32 v[4:5], v[56:57], v[0:1]
	v_mul_f64 v[0:1], v[58:59], v[0:1]
	v_fma_f64 v[0:1], v[56:57], v[2:3], -v[0:1]
	v_mul_f64 v[6:7], v[0:1], s[2:3]
	ds_read_b128 v[0:3], v42 offset:432
	v_accvgpr_read_b32 v10, a24
	v_mul_f64 v[4:5], v[4:5], s[2:3]
	v_add_u32_e32 v9, s4, v9
	v_accvgpr_read_b32 v12, a26
	v_accvgpr_read_b32 v13, a27
	global_store_dwordx4 v[8:9], v[4:7], off
	v_accvgpr_read_b32 v11, a25
	s_mulk_i32 s1, 0xed70
	s_waitcnt lgkmcnt(0)
	v_mul_f64 v[4:5], v[12:13], v[2:3]
	v_fmac_f64_e32 v[4:5], v[10:11], v[0:1]
	v_mul_f64 v[0:1], v[12:13], v[0:1]
	v_fma_f64 v[0:1], v[10:11], v[2:3], -v[0:1]
	v_mul_f64 v[6:7], v[0:1], s[2:3]
	ds_read_b128 v[0:3], v42 offset:1728
	v_mov_b32_e32 v10, 0xffffed70
	v_mad_u64_u32 v[8:9], s[6:7], s0, v10, v[8:9]
	s_sub_i32 s1, s1, s0
	v_accvgpr_read_b32 v12, a32
	v_mul_f64 v[4:5], v[4:5], s[2:3]
	v_add_u32_e32 v9, s1, v9
	v_accvgpr_read_b32 v14, a34
	v_accvgpr_read_b32 v15, a35
	global_store_dwordx4 v[8:9], v[4:7], off
	v_accvgpr_read_b32 v13, a33
	v_mad_u64_u32 v[8:9], s[6:7], s0, v43, v[8:9]
	s_waitcnt lgkmcnt(0)
	v_mul_f64 v[4:5], v[14:15], v[2:3]
	v_fmac_f64_e32 v[4:5], v[12:13], v[0:1]
	v_mul_f64 v[0:1], v[14:15], v[0:1]
	v_fma_f64 v[0:1], v[12:13], v[2:3], -v[0:1]
	v_mul_f64 v[6:7], v[0:1], s[2:3]
	ds_read_b128 v[0:3], v42 offset:3024
	v_accvgpr_read_b32 v12, a36
	v_mul_f64 v[4:5], v[4:5], s[2:3]
	v_add_u32_e32 v9, s4, v9
	v_accvgpr_read_b32 v14, a38
	v_accvgpr_read_b32 v15, a39
	global_store_dwordx4 v[8:9], v[4:7], off
	v_accvgpr_read_b32 v13, a37
	v_mad_u64_u32 v[8:9], s[6:7], s0, v43, v[8:9]
	s_waitcnt lgkmcnt(0)
	v_mul_f64 v[4:5], v[14:15], v[2:3]
	v_fmac_f64_e32 v[4:5], v[12:13], v[0:1]
	v_mul_f64 v[0:1], v[14:15], v[0:1]
	v_fma_f64 v[0:1], v[12:13], v[2:3], -v[0:1]
	v_mul_f64 v[6:7], v[0:1], s[2:3]
	ds_read_b128 v[0:3], v42 offset:4320
	;; [unrolled: 15-line block ×3, first 2 shown]
	v_mul_f64 v[4:5], v[4:5], s[2:3]
	v_add_u32_e32 v9, s4, v9
	global_store_dwordx4 v[8:9], v[4:7], off
	v_mad_u64_u32 v[8:9], s[6:7], s0, v43, v[8:9]
	s_waitcnt lgkmcnt(0)
	v_mul_f64 v[4:5], v[50:51], v[2:3]
	v_fmac_f64_e32 v[4:5], v[48:49], v[0:1]
	v_mul_f64 v[0:1], v[50:51], v[0:1]
	v_fma_f64 v[0:1], v[48:49], v[2:3], -v[0:1]
	v_mul_f64 v[6:7], v[0:1], s[2:3]
	ds_read_b128 v[0:3], v42 offset:864
	v_accvgpr_read_b32 v12, a16
	v_mul_f64 v[4:5], v[4:5], s[2:3]
	v_add_u32_e32 v9, s4, v9
	v_accvgpr_read_b32 v14, a18
	v_accvgpr_read_b32 v15, a19
	global_store_dwordx4 v[8:9], v[4:7], off
	v_accvgpr_read_b32 v13, a17
	v_mad_u64_u32 v[8:9], s[6:7], s0, v10, v[8:9]
	s_waitcnt lgkmcnt(0)
	v_mul_f64 v[4:5], v[14:15], v[2:3]
	v_fmac_f64_e32 v[4:5], v[12:13], v[0:1]
	v_mul_f64 v[0:1], v[14:15], v[0:1]
	v_fma_f64 v[0:1], v[12:13], v[2:3], -v[0:1]
	v_mul_f64 v[6:7], v[0:1], s[2:3]
	ds_read_b128 v[0:3], v42 offset:2160
	v_accvgpr_read_b32 v10, a20
	v_mul_f64 v[4:5], v[4:5], s[2:3]
	v_add_u32_e32 v9, s1, v9
	v_accvgpr_read_b32 v12, a22
	v_accvgpr_read_b32 v13, a23
	global_store_dwordx4 v[8:9], v[4:7], off
	v_accvgpr_read_b32 v11, a21
	v_mad_u64_u32 v[8:9], s[6:7], s0, v43, v[8:9]
	s_waitcnt lgkmcnt(0)
	v_mul_f64 v[4:5], v[12:13], v[2:3]
	v_fmac_f64_e32 v[4:5], v[10:11], v[0:1]
	v_mul_f64 v[0:1], v[12:13], v[0:1]
	v_fma_f64 v[0:1], v[10:11], v[2:3], -v[0:1]
	v_mul_f64 v[6:7], v[0:1], s[2:3]
	ds_read_b128 v[0:3], v42 offset:3456
	v_accvgpr_read_b32 v13, a7
	v_mul_f64 v[4:5], v[4:5], s[2:3]
	v_add_u32_e32 v9, s4, v9
	v_accvgpr_read_b32 v12, a6
	global_store_dwordx4 v[8:9], v[4:7], off
	v_accvgpr_read_b32 v11, a5
	v_accvgpr_read_b32 v10, a4
	s_waitcnt lgkmcnt(0)
	v_mul_f64 v[4:5], v[12:13], v[2:3]
	v_fmac_f64_e32 v[4:5], v[10:11], v[0:1]
	v_mul_f64 v[0:1], v[12:13], v[0:1]
	v_fma_f64 v[0:1], v[10:11], v[2:3], -v[0:1]
	v_mul_f64 v[6:7], v[0:1], s[2:3]
	ds_read_b128 v[0:3], v42 offset:4752
	v_mad_u64_u32 v[8:9], s[6:7], s0, v43, v[8:9]
	v_accvgpr_read_b32 v13, a3
	v_mul_f64 v[4:5], v[4:5], s[2:3]
	v_add_u32_e32 v9, s4, v9
	v_accvgpr_read_b32 v12, a2
	global_store_dwordx4 v[8:9], v[4:7], off
	v_accvgpr_read_b32 v11, a1
	v_accvgpr_read_b32 v10, a0
	s_waitcnt lgkmcnt(0)
	v_mul_f64 v[4:5], v[12:13], v[2:3]
	v_fmac_f64_e32 v[4:5], v[10:11], v[0:1]
	v_mul_f64 v[0:1], v[12:13], v[0:1]
	v_fma_f64 v[0:1], v[10:11], v[2:3], -v[0:1]
	v_mul_f64 v[6:7], v[0:1], s[2:3]
	ds_read_b128 v[0:3], v42 offset:6048
	v_mad_u64_u32 v[8:9], s[6:7], s0, v43, v[8:9]
	v_accvgpr_read_b32 v10, a10
	v_mul_f64 v[4:5], v[4:5], s[2:3]
	v_add_u32_e32 v9, s4, v9
	v_accvgpr_read_b32 v12, a12
	v_accvgpr_read_b32 v13, a13
	global_store_dwordx4 v[8:9], v[4:7], off
	v_accvgpr_read_b32 v11, a11
	s_waitcnt lgkmcnt(0)
	v_mul_f64 v[4:5], v[12:13], v[2:3]
	v_fmac_f64_e32 v[4:5], v[10:11], v[0:1]
	v_mul_f64 v[0:1], v[12:13], v[0:1]
	v_fma_f64 v[0:1], v[10:11], v[2:3], -v[0:1]
	v_mul_f64 v[6:7], v[0:1], s[2:3]
	v_mad_u64_u32 v[0:1], s[0:1], s0, v43, v[8:9]
	v_mul_f64 v[4:5], v[4:5], s[2:3]
	v_add_u32_e32 v1, s4, v1
	global_store_dwordx4 v[0:1], v[4:7], off
.LBB0_2:
	s_endpgm
	.section	.rodata,"a",@progbits
	.p2align	6, 0x0
	.amdhsa_kernel bluestein_single_back_len405_dim1_dp_op_CI_CI
		.amdhsa_group_segment_fixed_size 25920
		.amdhsa_private_segment_fixed_size 0
		.amdhsa_kernarg_size 104
		.amdhsa_user_sgpr_count 2
		.amdhsa_user_sgpr_dispatch_ptr 0
		.amdhsa_user_sgpr_queue_ptr 0
		.amdhsa_user_sgpr_kernarg_segment_ptr 1
		.amdhsa_user_sgpr_dispatch_id 0
		.amdhsa_user_sgpr_kernarg_preload_length 0
		.amdhsa_user_sgpr_kernarg_preload_offset 0
		.amdhsa_user_sgpr_private_segment_size 0
		.amdhsa_uses_dynamic_stack 0
		.amdhsa_enable_private_segment 0
		.amdhsa_system_sgpr_workgroup_id_x 1
		.amdhsa_system_sgpr_workgroup_id_y 0
		.amdhsa_system_sgpr_workgroup_id_z 0
		.amdhsa_system_sgpr_workgroup_info 0
		.amdhsa_system_vgpr_workitem_id 0
		.amdhsa_next_free_vgpr 319
		.amdhsa_next_free_sgpr 20
		.amdhsa_accum_offset 256
		.amdhsa_reserve_vcc 1
		.amdhsa_float_round_mode_32 0
		.amdhsa_float_round_mode_16_64 0
		.amdhsa_float_denorm_mode_32 3
		.amdhsa_float_denorm_mode_16_64 3
		.amdhsa_dx10_clamp 1
		.amdhsa_ieee_mode 1
		.amdhsa_fp16_overflow 0
		.amdhsa_tg_split 0
		.amdhsa_exception_fp_ieee_invalid_op 0
		.amdhsa_exception_fp_denorm_src 0
		.amdhsa_exception_fp_ieee_div_zero 0
		.amdhsa_exception_fp_ieee_overflow 0
		.amdhsa_exception_fp_ieee_underflow 0
		.amdhsa_exception_fp_ieee_inexact 0
		.amdhsa_exception_int_div_zero 0
	.end_amdhsa_kernel
	.text
.Lfunc_end0:
	.size	bluestein_single_back_len405_dim1_dp_op_CI_CI, .Lfunc_end0-bluestein_single_back_len405_dim1_dp_op_CI_CI
                                        ; -- End function
	.section	.AMDGPU.csdata,"",@progbits
; Kernel info:
; codeLenInByte = 16908
; NumSgprs: 26
; NumVgprs: 256
; NumAgprs: 63
; TotalNumVgprs: 319
; ScratchSize: 0
; MemoryBound: 0
; FloatMode: 240
; IeeeMode: 1
; LDSByteSize: 25920 bytes/workgroup (compile time only)
; SGPRBlocks: 3
; VGPRBlocks: 39
; NumSGPRsForWavesPerEU: 26
; NumVGPRsForWavesPerEU: 319
; AccumOffset: 256
; Occupancy: 1
; WaveLimiterHint : 1
; COMPUTE_PGM_RSRC2:SCRATCH_EN: 0
; COMPUTE_PGM_RSRC2:USER_SGPR: 2
; COMPUTE_PGM_RSRC2:TRAP_HANDLER: 0
; COMPUTE_PGM_RSRC2:TGID_X_EN: 1
; COMPUTE_PGM_RSRC2:TGID_Y_EN: 0
; COMPUTE_PGM_RSRC2:TGID_Z_EN: 0
; COMPUTE_PGM_RSRC2:TIDIG_COMP_CNT: 0
; COMPUTE_PGM_RSRC3_GFX90A:ACCUM_OFFSET: 63
; COMPUTE_PGM_RSRC3_GFX90A:TG_SPLIT: 0
	.text
	.p2alignl 6, 3212836864
	.fill 256, 4, 3212836864
	.type	__hip_cuid_7bed8c6268f5d3e,@object ; @__hip_cuid_7bed8c6268f5d3e
	.section	.bss,"aw",@nobits
	.globl	__hip_cuid_7bed8c6268f5d3e
__hip_cuid_7bed8c6268f5d3e:
	.byte	0                               ; 0x0
	.size	__hip_cuid_7bed8c6268f5d3e, 1

	.ident	"AMD clang version 19.0.0git (https://github.com/RadeonOpenCompute/llvm-project roc-6.4.0 25133 c7fe45cf4b819c5991fe208aaa96edf142730f1d)"
	.section	".note.GNU-stack","",@progbits
	.addrsig
	.addrsig_sym __hip_cuid_7bed8c6268f5d3e
	.amdgpu_metadata
---
amdhsa.kernels:
  - .agpr_count:     63
    .args:
      - .actual_access:  read_only
        .address_space:  global
        .offset:         0
        .size:           8
        .value_kind:     global_buffer
      - .actual_access:  read_only
        .address_space:  global
        .offset:         8
        .size:           8
        .value_kind:     global_buffer
      - .actual_access:  read_only
        .address_space:  global
        .offset:         16
        .size:           8
        .value_kind:     global_buffer
      - .actual_access:  read_only
        .address_space:  global
        .offset:         24
        .size:           8
        .value_kind:     global_buffer
      - .actual_access:  read_only
        .address_space:  global
        .offset:         32
        .size:           8
        .value_kind:     global_buffer
      - .offset:         40
        .size:           8
        .value_kind:     by_value
      - .address_space:  global
        .offset:         48
        .size:           8
        .value_kind:     global_buffer
      - .address_space:  global
        .offset:         56
        .size:           8
        .value_kind:     global_buffer
      - .address_space:  global
        .offset:         64
        .size:           8
        .value_kind:     global_buffer
      - .address_space:  global
        .offset:         72
        .size:           8
        .value_kind:     global_buffer
      - .offset:         80
        .size:           4
        .value_kind:     by_value
      - .address_space:  global
        .offset:         88
        .size:           8
        .value_kind:     global_buffer
      - .address_space:  global
        .offset:         96
        .size:           8
        .value_kind:     global_buffer
    .group_segment_fixed_size: 25920
    .kernarg_segment_align: 8
    .kernarg_segment_size: 104
    .language:       OpenCL C
    .language_version:
      - 2
      - 0
    .max_flat_workgroup_size: 108
    .name:           bluestein_single_back_len405_dim1_dp_op_CI_CI
    .private_segment_fixed_size: 0
    .sgpr_count:     26
    .sgpr_spill_count: 0
    .symbol:         bluestein_single_back_len405_dim1_dp_op_CI_CI.kd
    .uniform_work_group_size: 1
    .uses_dynamic_stack: false
    .vgpr_count:     319
    .vgpr_spill_count: 0
    .wavefront_size: 64
amdhsa.target:   amdgcn-amd-amdhsa--gfx950
amdhsa.version:
  - 1
  - 2
...

	.end_amdgpu_metadata
